;; amdgpu-corpus repo=ROCm/rocFFT kind=compiled arch=gfx1100 opt=O3
	.text
	.amdgcn_target "amdgcn-amd-amdhsa--gfx1100"
	.amdhsa_code_object_version 6
	.protected	bluestein_single_back_len1575_dim1_dp_op_CI_CI ; -- Begin function bluestein_single_back_len1575_dim1_dp_op_CI_CI
	.globl	bluestein_single_back_len1575_dim1_dp_op_CI_CI
	.p2align	8
	.type	bluestein_single_back_len1575_dim1_dp_op_CI_CI,@function
bluestein_single_back_len1575_dim1_dp_op_CI_CI: ; @bluestein_single_back_len1575_dim1_dp_op_CI_CI
; %bb.0:
	s_load_b128 s[8:11], s[0:1], 0x28
	v_mul_u32_u24_e32 v1, 0x411, v0
	s_mov_b32 s2, exec_lo
	v_mov_b32_e32 v10, 0
	s_delay_alu instid0(VALU_DEP_2) | instskip(NEXT) | instid1(VALU_DEP_1)
	v_lshrrev_b32_e32 v1, 16, v1
	v_add_nc_u32_e32 v9, s15, v1
	s_waitcnt lgkmcnt(0)
	s_delay_alu instid0(VALU_DEP_1)
	v_cmpx_gt_u64_e64 s[8:9], v[9:10]
	s_cbranch_execz .LBB0_31
; %bb.1:
	s_clause 0x1
	s_load_b128 s[4:7], s[0:1], 0x18
	s_load_b64 s[2:3], s[0:1], 0x0
	v_mul_lo_u16 v1, v1, 63
	s_delay_alu instid0(VALU_DEP_1) | instskip(NEXT) | instid1(VALU_DEP_1)
	v_sub_nc_u16 v2, v0, v1
	v_and_b32_e32 v164, 0xffff, v2
	s_delay_alu instid0(VALU_DEP_1)
	v_lshlrev_b32_e32 v108, 4, v164
	s_waitcnt lgkmcnt(0)
	s_load_b128 s[12:15], s[4:5], 0x0
	s_clause 0x4
	global_load_b128 v[169:172], v108, s[2:3]
	global_load_b128 v[197:200], v108, s[2:3] offset:1008
	global_load_b128 v[209:212], v108, s[2:3] offset:2016
	;; [unrolled: 1-line block ×4, first 2 shown]
	v_add_co_u32 v7, s4, s2, v108
	s_delay_alu instid0(VALU_DEP_1) | instskip(NEXT) | instid1(VALU_DEP_2)
	v_add_co_ci_u32_e64 v111, null, s3, 0, s4
	v_add_co_u32 v0, vcc_lo, 0x2000, v7
	s_delay_alu instid0(VALU_DEP_2)
	v_add_co_ci_u32_e32 v1, vcc_lo, 0, v111, vcc_lo
	v_add_co_u32 v13, vcc_lo, 0x4000, v7
	v_add_co_ci_u32_e32 v14, vcc_lo, 0, v111, vcc_lo
	v_add_co_u32 v95, vcc_lo, 0x3000, v7
	;; [unrolled: 2-line block ×3, first 2 shown]
	v_add_co_ci_u32_e32 v98, vcc_lo, 0, v111, vcc_lo
	s_waitcnt lgkmcnt(0)
	v_mad_u64_u32 v[3:4], null, s14, v9, 0
	scratch_store_b32 off, v7, off offset:4 ; 4-byte Folded Spill
	v_add_co_u32 v93, vcc_lo, 0x1000, v7
	v_mov_b32_e32 v7, v9
	v_mad_u64_u32 v[5:6], null, s12, v164, 0
	s_clause 0x2
	global_load_b128 v[237:240], v[13:14], off offset:416
	global_load_b128 v[241:244], v[0:1], off offset:208
	;; [unrolled: 1-line block ×3, first 2 shown]
	v_add_co_ci_u32_e32 v94, vcc_lo, 0, v111, vcc_lo
	scratch_store_b64 off, v[7:8], off offset:32 ; 8-byte Folded Spill
	s_clause 0x3
	global_load_b128 v[229:232], v[13:14], off offset:1424
	global_load_b128 v[221:224], v[13:14], off offset:2432
	;; [unrolled: 1-line block ×4, first 2 shown]
	v_mad_u64_u32 v[7:8], null, s15, v9, v[4:5]
	s_mul_i32 s3, s13, 0x20d
	s_mul_hi_u32 s5, s12, 0x20d
	s_mul_i32 s2, s12, 0x20d
	s_add_i32 s3, s5, s3
	s_mul_hi_u32 s9, s12, 0xfffffc25
	s_mul_i32 s8, s13, 0xfffffc25
	s_delay_alu instid0(VALU_DEP_1)
	v_mad_u64_u32 v[8:9], null, s13, v164, v[6:7]
	v_mov_b32_e32 v4, v7
	s_sub_i32 s5, s9, s12
	s_mul_i32 s4, s12, 0xfffffc25
	s_add_i32 s5, s5, s8
	scratch_store_b64 off, v[13:14], off offset:24 ; 8-byte Folded Spill
	v_lshlrev_b64 v[0:1], 4, v[3:4]
	v_mov_b32_e32 v6, v8
	s_clause 0x3
	global_load_b128 v[213:216], v[13:14], off offset:3440
	global_load_b128 v[146:149], v[93:94], off offset:944
	;; [unrolled: 1-line block ×4, first 2 shown]
	v_lshlrev_b64 v[3:4], 4, v[5:6]
	v_add_co_u32 v0, vcc_lo, s10, v0
	v_add_co_ci_u32_e32 v1, vcc_lo, s11, v1, vcc_lo
	s_lshl_b64 s[10:11], s[2:3], 4
	s_delay_alu instid0(VALU_DEP_2) | instskip(NEXT) | instid1(VALU_DEP_2)
	v_add_co_u32 v0, vcc_lo, v0, v3
	v_add_co_ci_u32_e32 v1, vcc_lo, v1, v4, vcc_lo
	s_lshl_b64 s[2:3], s[4:5], 4
	s_delay_alu instid0(VALU_DEP_2) | instskip(NEXT) | instid1(VALU_DEP_2)
	v_add_co_u32 v7, vcc_lo, v0, s10
	v_add_co_ci_u32_e32 v8, vcc_lo, s11, v1, vcc_lo
	s_delay_alu instid0(VALU_DEP_2) | instskip(NEXT) | instid1(VALU_DEP_2)
	v_add_co_u32 v11, vcc_lo, v7, s10
	v_add_co_ci_u32_e32 v12, vcc_lo, s11, v8, vcc_lo
	s_clause 0x1
	global_load_b128 v[3:6], v[0:1], off
	global_load_b128 v[7:10], v[7:8], off
	v_add_co_u32 v15, vcc_lo, v11, s2
	v_add_co_ci_u32_e32 v16, vcc_lo, s3, v12, vcc_lo
	s_delay_alu instid0(VALU_DEP_2) | instskip(NEXT) | instid1(VALU_DEP_2)
	v_add_co_u32 v19, vcc_lo, v15, s10
	v_add_co_ci_u32_e32 v20, vcc_lo, s11, v16, vcc_lo
	s_clause 0x1
	global_load_b128 v[11:14], v[11:12], off
	global_load_b128 v[15:18], v[15:16], off
	v_add_co_u32 v23, vcc_lo, v19, s10
	v_add_co_ci_u32_e32 v24, vcc_lo, s11, v20, vcc_lo
	global_load_b128 v[19:22], v[19:20], off
	v_add_co_u32 v27, vcc_lo, v23, s2
	v_add_co_ci_u32_e32 v28, vcc_lo, s3, v24, vcc_lo
	;; [unrolled: 3-line block ×10, first 2 shown]
	s_delay_alu instid0(VALU_DEP_2) | instskip(NEXT) | instid1(VALU_DEP_2)
	v_add_co_u32 v63, vcc_lo, v59, s2
	v_add_co_ci_u32_e32 v64, vcc_lo, s3, v60, vcc_lo
	s_delay_alu instid0(VALU_DEP_2) | instskip(NEXT) | instid1(VALU_DEP_2)
	v_add_co_u32 v67, vcc_lo, v63, s10
	v_add_co_ci_u32_e32 v68, vcc_lo, s11, v64, vcc_lo
	;; [unrolled: 3-line block ×3, first 2 shown]
	global_load_b128 v[55:58], v[55:56], off
	global_load_b128 v[59:62], v[59:60], off
	global_load_b128 v[63:66], v[63:64], off
	global_load_b128 v[67:70], v[67:68], off
	global_load_b128 v[71:74], v[0:1], off
	v_add_co_u32 v0, vcc_lo, v0, s2
	v_add_co_ci_u32_e32 v1, vcc_lo, s3, v1, vcc_lo
	s_clause 0x1
	global_load_b128 v[173:176], v[97:98], off offset:352
	global_load_b128 v[165:168], v[97:98], off offset:1360
	v_add_co_u32 v79, vcc_lo, v0, s10
	v_add_co_ci_u32_e32 v80, vcc_lo, s11, v1, vcc_lo
	global_load_b128 v[75:78], v[0:1], off
	v_add_co_u32 v0, vcc_lo, v79, s10
	v_add_co_ci_u32_e32 v1, vcc_lo, s11, v80, vcc_lo
	global_load_b128 v[177:180], v[93:94], off offset:1952
	v_add_co_u32 v91, vcc_lo, v0, s2
	v_add_co_ci_u32_e32 v92, vcc_lo, s3, v1, vcc_lo
	global_load_b128 v[79:82], v[79:80], off
	global_load_b128 v[181:184], v[95:96], off offset:2160
	global_load_b128 v[83:86], v[0:1], off
	global_load_b128 v[185:188], v[97:98], off offset:2368
	global_load_b128 v[87:90], v[91:92], off
	v_add_co_u32 v91, vcc_lo, v91, s10
	v_add_co_ci_u32_e32 v92, vcc_lo, s11, v92, vcc_lo
	scratch_store_b64 off, v[93:94], off offset:40 ; 8-byte Folded Spill
	v_add_co_u32 v0, vcc_lo, v91, s10
	v_add_co_ci_u32_e32 v1, vcc_lo, s11, v92, vcc_lo
	global_load_b128 v[193:196], v[93:94], off offset:2960
	global_load_b128 v[91:94], v[91:92], off
	s_clause 0x1
	global_load_b128 v[201:204], v[95:96], off offset:3168
	global_load_b128 v[205:208], v[97:98], off offset:3376
	global_load_b128 v[95:98], v[0:1], off
	v_cmp_gt_u16_e32 vcc_lo, 21, v2
	s_waitcnt vmcnt(47)
	scratch_store_b128 off, v[169:172], off offset:128 ; 16-byte Folded Spill
	s_waitcnt vmcnt(46)
	scratch_store_b128 off, v[197:200], off offset:240 ; 16-byte Folded Spill
	;; [unrolled: 2-line block ×9, first 2 shown]
	s_waitcnt vmcnt(37)
	s_clause 0x1
	scratch_store_b128 off, v[225:228], off offset:352
	scratch_store_b128 off, v[221:224], off offset:336
	s_waitcnt vmcnt(36)
	scratch_store_b128 off, v[217:220], off offset:320 ; 16-byte Folded Spill
	s_waitcnt vmcnt(35)
	scratch_store_b128 off, v[213:216], off offset:304 ; 16-byte Folded Spill
	s_waitcnt vmcnt(33)
	s_clause 0x1
	scratch_store_b128 off, v[154:157], off offset:80
	scratch_store_b128 off, v[146:149], off offset:48
	s_waitcnt vmcnt(32)
	scratch_store_b128 off, v[150:153], off offset:64 ; 16-byte Folded Spill
	s_waitcnt vmcnt(31)
	v_mul_f64 v[99:100], v[5:6], v[171:172]
	v_mul_f64 v[101:102], v[3:4], v[171:172]
	s_waitcnt vmcnt(30)
	v_mul_f64 v[103:104], v[9:10], v[243:244]
	v_mul_f64 v[105:106], v[7:8], v[243:244]
	;; [unrolled: 3-line block ×9, first 2 shown]
	v_fma_f64 v[3:4], v[3:4], v[169:170], v[99:100]
	v_fma_f64 v[5:6], v[5:6], v[169:170], -v[101:102]
	v_fma_f64 v[7:8], v[7:8], v[241:242], v[103:104]
	s_waitcnt vmcnt(22)
	v_mul_f64 v[138:139], v[41:42], v[191:192]
	v_mul_f64 v[140:141], v[39:40], v[191:192]
	v_fma_f64 v[9:10], v[9:10], v[241:242], -v[105:106]
	s_waitcnt vmcnt(21)
	v_mul_f64 v[142:143], v[45:46], v[219:220]
	v_mul_f64 v[144:145], v[43:44], v[219:220]
	v_fma_f64 v[11:12], v[11:12], v[237:238], v[109:110]
	v_fma_f64 v[13:14], v[13:14], v[237:238], -v[112:113]
	v_fma_f64 v[15:16], v[15:16], v[197:198], v[114:115]
	s_waitcnt vmcnt(20)
	v_mul_f64 v[99:100], v[49:50], v[215:216]
	v_mul_f64 v[101:102], v[47:48], v[215:216]
	v_fma_f64 v[17:18], v[17:18], v[197:198], -v[116:117]
	v_fma_f64 v[19:20], v[19:20], v[233:234], v[118:119]
	v_fma_f64 v[21:22], v[21:22], v[233:234], -v[120:121]
	s_waitcnt vmcnt(19)
	v_mul_f64 v[103:104], v[53:54], v[160:161]
	v_mul_f64 v[105:106], v[51:52], v[160:161]
	v_fma_f64 v[23:24], v[23:24], v[229:230], v[122:123]
	v_fma_f64 v[25:26], v[25:26], v[229:230], -v[124:125]
	v_fma_f64 v[27:28], v[27:28], v[209:210], v[126:127]
	v_fma_f64 v[29:30], v[29:30], v[209:210], -v[128:129]
	;; [unrolled: 2-line block ×3, first 2 shown]
	s_waitcnt vmcnt(18)
	v_mul_f64 v[109:110], v[57:58], v[156:157]
	v_mul_f64 v[112:113], v[55:56], v[156:157]
	v_fma_f64 v[37:38], v[37:38], v[221:222], -v[136:137]
	s_waitcnt vmcnt(16)
	v_mul_f64 v[118:119], v[65:66], v[148:149]
	v_mul_f64 v[120:121], v[63:64], v[148:149]
	s_waitcnt vmcnt(15)
	v_mul_f64 v[122:123], v[69:70], v[152:153]
	v_mul_f64 v[124:125], v[67:68], v[152:153]
	v_fma_f64 v[39:40], v[39:40], v[189:190], v[138:139]
	v_fma_f64 v[41:42], v[41:42], v[189:190], -v[140:141]
	s_waitcnt vmcnt(13)
	v_mul_f64 v[114:115], v[61:62], v[175:176]
	v_mul_f64 v[116:117], v[59:60], v[175:176]
	s_waitcnt vmcnt(12)
	v_mul_f64 v[126:127], v[73:74], v[167:168]
	v_fma_f64 v[43:44], v[43:44], v[217:218], v[142:143]
	v_fma_f64 v[45:46], v[45:46], v[217:218], -v[144:145]
	v_mul_f64 v[128:129], v[71:72], v[167:168]
	v_fma_f64 v[35:36], v[35:36], v[221:222], v[134:135]
	scratch_store_b128 off, v[173:176], off offset:144 ; 16-byte Folded Spill
	v_fma_f64 v[47:48], v[47:48], v[213:214], v[99:100]
	v_fma_f64 v[49:50], v[49:50], v[213:214], -v[101:102]
	s_waitcnt vmcnt(10)
	scratch_store_b128 off, v[177:180], off offset:160 ; 16-byte Folded Spill
	v_mul_f64 v[130:131], v[77:78], v[179:180]
	s_waitcnt vmcnt(8)
	v_mul_f64 v[99:100], v[81:82], v[183:184]
	v_mul_f64 v[101:102], v[79:80], v[183:184]
	v_fma_f64 v[51:52], v[51:52], v[158:159], v[103:104]
	s_waitcnt vmcnt(6)
	v_mul_f64 v[103:104], v[85:86], v[187:188]
	v_mul_f64 v[136:137], v[83:84], v[187:188]
	;; [unrolled: 1-line block ×3, first 2 shown]
	v_fma_f64 v[53:54], v[53:54], v[158:159], -v[105:106]
	s_clause 0x2
	scratch_store_b128 off, v[165:168], off offset:112
	scratch_store_b128 off, v[181:184], off offset:176
	;; [unrolled: 1-line block ×3, first 2 shown]
	s_waitcnt vmcnt(2)
	v_mul_f64 v[138:139], v[93:94], v[203:204]
	v_mul_f64 v[140:141], v[91:92], v[203:204]
	s_waitcnt vmcnt(0)
	v_mul_f64 v[142:143], v[97:98], v[207:208]
	v_mul_f64 v[144:145], v[95:96], v[207:208]
	;; [unrolled: 1-line block ×4, first 2 shown]
	v_fma_f64 v[55:56], v[55:56], v[154:155], v[109:110]
	v_fma_f64 v[57:58], v[57:58], v[154:155], -v[112:113]
	v_fma_f64 v[63:64], v[63:64], v[146:147], v[118:119]
	v_fma_f64 v[65:66], v[65:66], v[146:147], -v[120:121]
	;; [unrolled: 2-line block ×3, first 2 shown]
	s_clause 0x1
	scratch_store_b128 off, v[193:196], off offset:224
	scratch_store_b128 off, v[201:204], off offset:256
	v_fma_f64 v[59:60], v[59:60], v[173:174], v[114:115]
	v_fma_f64 v[61:62], v[61:62], v[173:174], -v[116:117]
	v_fma_f64 v[71:72], v[71:72], v[165:166], v[126:127]
	scratch_store_b128 off, v[205:208], off offset:272 ; 16-byte Folded Spill
	s_load_b64 s[8:9], s[0:1], 0x38
	s_load_b128 s[4:7], s[6:7], 0x0
	v_fma_f64 v[73:74], v[73:74], v[165:166], -v[128:129]
	v_fma_f64 v[75:76], v[75:76], v[177:178], v[130:131]
	v_fma_f64 v[79:80], v[79:80], v[181:182], v[99:100]
	v_fma_f64 v[81:82], v[81:82], v[181:182], -v[101:102]
	v_fma_f64 v[83:84], v[83:84], v[185:186], v[103:104]
	v_fma_f64 v[85:86], v[85:86], v[185:186], -v[136:137]
	v_fma_f64 v[77:78], v[77:78], v[177:178], -v[132:133]
	v_fma_f64 v[91:92], v[91:92], v[201:202], v[138:139]
	v_fma_f64 v[93:94], v[93:94], v[201:202], -v[140:141]
	v_fma_f64 v[95:96], v[95:96], v[205:206], v[142:143]
	;; [unrolled: 2-line block ×3, first 2 shown]
	v_fma_f64 v[89:90], v[89:90], v[193:194], -v[134:135]
	ds_store_b128 v108, v[3:6]
	ds_store_b128 v108, v[15:18] offset:1008
	ds_store_b128 v108, v[7:10] offset:8400
	;; [unrolled: 1-line block ×23, first 2 shown]
	s_and_saveexec_b32 s12, vcc_lo
	s_cbranch_execz .LBB0_3
; %bb.2:
	v_add_co_u32 v4, s2, v0, s2
	s_delay_alu instid0(VALU_DEP_1) | instskip(NEXT) | instid1(VALU_DEP_2)
	v_add_co_ci_u32_e64 v5, s2, s3, v1, s2
	v_add_co_u32 v8, s2, v4, s10
	global_load_b128 v[0:3], v[4:5], off
	scratch_load_b32 v4, off, off offset:4  ; 4-byte Folded Reload
	v_add_co_ci_u32_e64 v9, s2, s11, v5, s2
	s_waitcnt vmcnt(0)
	v_add_co_u32 v16, s2, 0x6000, v4
	scratch_load_b64 v[4:5], off, off offset:40 ; 8-byte Folded Reload
	v_add_co_ci_u32_e64 v17, s2, 0, v111, s2
	v_add_co_u32 v20, s2, v8, s10
	s_delay_alu instid0(VALU_DEP_1)
	v_add_co_ci_u32_e64 v21, s2, s11, v9, s2
	s_waitcnt vmcnt(0)
	global_load_b128 v[4:7], v[4:5], off offset:3968
	global_load_b128 v[8:11], v[8:9], off
	scratch_load_b64 v[12:13], off, off offset:24 ; 8-byte Folded Reload
	s_waitcnt vmcnt(0)
	s_clause 0x1
	global_load_b128 v[12:15], v[12:13], off offset:80
	global_load_b128 v[16:19], v[16:17], off offset:288
	global_load_b128 v[20:23], v[20:21], off
	v_mul_f64 v[24:25], v[2:3], v[6:7]
	v_mul_f64 v[6:7], v[0:1], v[6:7]
	s_delay_alu instid0(VALU_DEP_2) | instskip(NEXT) | instid1(VALU_DEP_2)
	v_fma_f64 v[0:1], v[0:1], v[4:5], v[24:25]
	v_fma_f64 v[2:3], v[2:3], v[4:5], -v[6:7]
	s_waitcnt vmcnt(2)
	v_mul_f64 v[26:27], v[10:11], v[14:15]
	v_mul_f64 v[14:15], v[8:9], v[14:15]
	s_waitcnt vmcnt(0)
	v_mul_f64 v[28:29], v[22:23], v[18:19]
	v_mul_f64 v[18:19], v[20:21], v[18:19]
	s_delay_alu instid0(VALU_DEP_4) | instskip(NEXT) | instid1(VALU_DEP_4)
	v_fma_f64 v[4:5], v[8:9], v[12:13], v[26:27]
	v_fma_f64 v[6:7], v[10:11], v[12:13], -v[14:15]
	s_delay_alu instid0(VALU_DEP_4) | instskip(NEXT) | instid1(VALU_DEP_4)
	v_fma_f64 v[8:9], v[20:21], v[16:17], v[28:29]
	v_fma_f64 v[10:11], v[22:23], v[16:17], -v[18:19]
	ds_store_b128 v108, v[0:3] offset:8064
	ds_store_b128 v108, v[4:7] offset:16464
	;; [unrolled: 1-line block ×3, first 2 shown]
.LBB0_3:
	s_or_b32 exec_lo, exec_lo, s12
	s_waitcnt lgkmcnt(0)
	s_waitcnt_vscnt null, 0x0
	s_barrier
	buffer_gl0_inv
	ds_load_b128 v[0:3], v108
	ds_load_b128 v[4:7], v108 offset:1008
	ds_load_b128 v[104:107], v108 offset:8400
	;; [unrolled: 1-line block ×23, first 2 shown]
                                        ; implicit-def: $vgpr36_vgpr37
                                        ; implicit-def: $vgpr44_vgpr45
                                        ; implicit-def: $vgpr48_vgpr49
	s_and_saveexec_b32 s2, vcc_lo
	s_cbranch_execz .LBB0_5
; %bb.4:
	ds_load_b128 v[36:39], v108 offset:8064
	ds_load_b128 v[44:47], v108 offset:16464
	;; [unrolled: 1-line block ×3, first 2 shown]
.LBB0_5:
	s_or_b32 exec_lo, exec_lo, s2
	s_waitcnt lgkmcnt(21)
	v_add_f64 v[109:110], v[0:1], v[104:105]
	v_add_f64 v[112:113], v[2:3], v[106:107]
	s_waitcnt lgkmcnt(19)
	v_add_f64 v[114:115], v[104:105], v[100:101]
	v_add_f64 v[116:117], v[106:107], v[102:103]
	v_add_f64 v[106:107], v[106:107], -v[102:103]
	v_add_f64 v[104:105], v[104:105], -v[100:101]
	s_waitcnt lgkmcnt(18)
	v_add_f64 v[118:119], v[92:93], v[96:97]
	v_add_f64 v[120:121], v[94:95], v[98:99]
	v_add_f64 v[122:123], v[94:95], -v[98:99]
	v_add_f64 v[124:125], v[92:93], -v[96:97]
	s_waitcnt lgkmcnt(12)
	v_add_f64 v[126:127], v[80:81], v[76:77]
	v_add_f64 v[128:129], v[82:83], v[78:79]
	s_waitcnt lgkmcnt(7)
	v_add_f64 v[130:131], v[72:73], v[68:69]
	v_add_f64 v[132:133], v[74:75], v[70:71]
	;; [unrolled: 3-line block ×3, first 2 shown]
	v_add_f64 v[138:139], v[64:65], -v[60:61]
	s_waitcnt lgkmcnt(1)
	v_add_f64 v[140:141], v[58:59], v[54:55]
	v_add_f64 v[142:143], v[58:59], -v[54:55]
	v_add_f64 v[144:145], v[56:57], -v[52:53]
	s_waitcnt lgkmcnt(0)
	v_add_f64 v[146:147], v[42:43], -v[18:19]
	v_add_f64 v[148:149], v[40:41], -v[16:17]
	;; [unrolled: 1-line block ×4, first 2 shown]
	s_mov_b32 s2, 0xe8584caa
	s_mov_b32 s3, 0x3febb67a
	;; [unrolled: 1-line block ×4, first 2 shown]
	s_barrier
	buffer_gl0_inv
	v_add_co_u32 v233, null, 0xbd, v164
	v_add_f64 v[100:101], v[109:110], v[100:101]
	v_add_f64 v[102:103], v[112:113], v[102:103]
	;; [unrolled: 1-line block ×4, first 2 shown]
	s_delay_alu instid0(VALU_DEP_2) | instskip(NEXT) | instid1(VALU_DEP_2)
	v_add_f64 v[92:93], v[109:110], v[96:97]
	v_add_f64 v[94:95], v[112:113], v[98:99]
	;; [unrolled: 1-line block ×6, first 2 shown]
	v_add_f64 v[90:91], v[90:91], -v[86:87]
	v_add_f64 v[88:89], v[88:89], -v[84:85]
	v_add_f64 v[84:85], v[96:97], v[84:85]
	v_add_f64 v[86:87], v[98:99], v[86:87]
	v_add_f64 v[96:97], v[12:13], v[80:81]
	v_add_f64 v[98:99], v[14:15], v[82:83]
	v_add_f64 v[82:83], v[82:83], -v[78:79]
	v_add_f64 v[80:81], v[80:81], -v[76:77]
	v_fma_f64 v[109:110], v[109:110], -0.5, v[8:9]
	v_fma_f64 v[112:113], v[112:113], -0.5, v[10:11]
	v_add_f64 v[76:77], v[96:97], v[76:77]
	v_add_f64 v[78:79], v[98:99], v[78:79]
	;; [unrolled: 1-line block ×4, first 2 shown]
	v_add_f64 v[74:75], v[74:75], -v[70:71]
	v_add_f64 v[72:73], v[72:73], -v[68:69]
	v_fma_f64 v[20:21], v[130:131], -0.5, v[20:21]
	v_fma_f64 v[22:23], v[132:133], -0.5, v[22:23]
	v_add_f64 v[68:69], v[96:97], v[68:69]
	v_add_f64 v[70:71], v[98:99], v[70:71]
	;; [unrolled: 1-line block ×4, first 2 shown]
	v_add_f64 v[66:67], v[66:67], -v[62:63]
	v_add_f64 v[64:65], v[28:29], v[56:57]
	v_fma_f64 v[24:25], v[134:135], -0.5, v[24:25]
	v_fma_f64 v[26:27], v[136:137], -0.5, v[26:27]
	v_add_f64 v[60:61], v[96:97], v[60:61]
	v_add_f64 v[62:63], v[98:99], v[62:63]
	;; [unrolled: 1-line block ×16, first 2 shown]
	v_fma_f64 v[44:45], v[114:115], -0.5, v[0:1]
	v_fma_f64 v[46:47], v[116:117], -0.5, v[2:3]
	;; [unrolled: 1-line block ×5, first 2 shown]
	v_fma_f64 v[28:29], v[90:91], s[2:3], v[109:110]
	v_fma_f64 v[126:127], v[96:97], -0.5, v[34:35]
	v_fma_f64 v[34:35], v[88:89], s[2:3], v[112:113]
	v_add_f64 v[16:17], v[16:17], v[48:49]
	v_add_f64 v[18:19], v[18:19], v[50:51]
	v_fma_f64 v[48:49], v[118:119], -0.5, v[4:5]
	v_fma_f64 v[50:51], v[120:121], -0.5, v[6:7]
	;; [unrolled: 1-line block ×6, first 2 shown]
	v_fma_f64 v[0:1], v[106:107], s[2:3], v[44:45]
	v_fma_f64 v[2:3], v[104:105], s[10:11], v[46:47]
	;; [unrolled: 1-line block ×23, first 2 shown]
	v_mul_lo_u16 v20, v164, 3
	v_fma_f64 v[72:73], v[66:67], s[10:11], v[24:25]
	v_fma_f64 v[74:75], v[138:139], s[2:3], v[26:27]
	;; [unrolled: 1-line block ×4, first 2 shown]
	v_and_b32_e32 v109, 0xffff, v20
	v_fma_f64 v[96:97], v[146:147], s[2:3], v[120:121]
	v_fma_f64 v[20:21], v[150:151], s[2:3], v[128:129]
	;; [unrolled: 1-line block ×4, first 2 shown]
	v_lshlrev_b32_e32 v113, 4, v109
	v_add_co_u32 v109, s2, v164, 63
	v_fma_f64 v[24:25], v[150:151], s[10:11], v[128:129]
	v_fma_f64 v[22:23], v[152:153], s[10:11], v[130:131]
	v_add_co_ci_u32_e64 v110, null, 0, 0, s2
	v_fma_f64 v[82:83], v[144:145], s[10:11], v[118:119]
	v_add_co_u32 v110, s2, 0x7e, v164
	ds_store_b128 v113, v[100:103]
	ds_store_b128 v113, v[0:3] offset:16
	v_add_co_ci_u32_e64 v0, null, 0, 0, s2
	v_mul_u32_u24_e32 v112, 3, v109
	v_mul_u32_u24_e32 v0, 3, v110
	v_add_co_u32 v163, s2, 0xfc, v164
	s_delay_alu instid0(VALU_DEP_1) | instskip(NEXT) | instid1(VALU_DEP_4)
	v_add_co_ci_u32_e64 v1, null, 0, 0, s2
	v_lshlrev_b32_e32 v2, 4, v112
	s_delay_alu instid0(VALU_DEP_4)
	v_lshlrev_b32_e32 v3, 4, v0
	v_mul_u32_u24_e32 v0, 3, v233
	v_mul_u32_u24_e32 v1, 3, v163
	scratch_store_b32 off, v113, off offset:560 ; 4-byte Folded Spill
	ds_store_b128 v113, v[4:7] offset:32
	ds_store_b128 v2, v[92:95]
	ds_store_b128 v2, v[8:11] offset:16
	scratch_store_b32 off, v2, off offset:620 ; 4-byte Folded Spill
	ds_store_b128 v2, v[12:15] offset:32
	v_lshlrev_b32_e32 v2, 4, v0
	v_lshlrev_b32_e32 v0, 4, v1
	v_add_co_u32 v116, s10, 0x13b, v164
	s_load_b64 s[2:3], s[0:1], 0x8
	ds_store_b128 v3, v[84:87]
	ds_store_b128 v3, v[28:31] offset:16
	scratch_store_b32 off, v3, off offset:612 ; 4-byte Folded Spill
	ds_store_b128 v3, v[32:35] offset:32
	ds_store_b128 v2, v[76:79]
	ds_store_b128 v2, v[36:39] offset:16
	scratch_store_b32 off, v2, off offset:604 ; 4-byte Folded Spill
	ds_store_b128 v2, v[44:47] offset:32
	;; [unrolled: 4-line block ×3, first 2 shown]
	v_add_co_ci_u32_e64 v0, null, 0, 0, s10
	v_add_co_u32 v114, s0, 0x17a, v164
	v_mul_u32_u24_e32 v0, 3, v116
	v_add_co_ci_u32_e64 v1, null, 0, 0, s0
	v_add_co_u32 v115, s0, 0x1b9, v164
	s_delay_alu instid0(VALU_DEP_3) | instskip(SKIP_2) | instid1(VALU_DEP_4)
	v_lshlrev_b32_e32 v2, 4, v0
	v_add_co_ci_u32_e64 v0, null, 0, 0, s0
	v_mul_u32_u24_e32 v1, 3, v114
	v_mul_u32_u24_e32 v0, 3, v115
	v_add_co_u32 v113, null, 0x1f8, v164
	ds_store_b128 v2, v[60:63]
	ds_store_b128 v2, v[64:67] offset:16
	v_lshlrev_b32_e32 v1, 4, v1
	scratch_store_b32 off, v2, off offset:616 ; 4-byte Folded Spill
	ds_store_b128 v2, v[72:75] offset:32
	v_lshlrev_b32_e32 v0, 4, v0
	v_mul_u32_u24_e32 v2, 3, v113
	ds_store_b128 v1, v[52:55]
	ds_store_b128 v1, v[80:83] offset:16
	s_clause 0x1
	scratch_store_b32 off, v2, off offset:1396
	scratch_store_b32 off, v1, off offset:608
	ds_store_b128 v1, v[88:91] offset:32
	ds_store_b128 v0, v[40:43]
	ds_store_b128 v0, v[96:99] offset:16
	scratch_store_b32 off, v0, off offset:600 ; 4-byte Folded Spill
	ds_store_b128 v0, v[104:107] offset:32
	s_and_saveexec_b32 s0, vcc_lo
	s_cbranch_execz .LBB0_7
; %bb.6:
	v_mul_u32_u24_e32 v0, 3, v113
	s_delay_alu instid0(VALU_DEP_1)
	v_lshlrev_b32_e32 v0, 4, v0
	ds_store_b128 v0, v[16:19]
	ds_store_b128 v0, v[20:23] offset:16
	ds_store_b128 v0, v[24:27] offset:32
.LBB0_7:
	s_or_b32 exec_lo, exec_lo, s0
	s_waitcnt lgkmcnt(0)
	s_waitcnt_vscnt null, 0x0
	s_barrier
	buffer_gl0_inv
	ds_load_b128 v[56:59], v108
	ds_load_b128 v[52:55], v108 offset:1008
	ds_load_b128 v[104:107], v108 offset:8400
	;; [unrolled: 1-line block ×23, first 2 shown]
	s_and_saveexec_b32 s0, vcc_lo
	s_cbranch_execz .LBB0_9
; %bb.8:
	ds_load_b128 v[16:19], v108 offset:8064
	ds_load_b128 v[20:23], v108 offset:16464
	;; [unrolled: 1-line block ×3, first 2 shown]
.LBB0_9:
	s_or_b32 exec_lo, exec_lo, s0
	v_and_b32_e32 v112, 0xff, v164
	v_and_b32_e32 v185, 0xff, v109
	;; [unrolled: 1-line block ×4, first 2 shown]
	s_mov_b32 s0, 0xe8584caa
	v_mul_lo_u16 v117, 0xab, v112
	s_mov_b32 s1, 0x3febb67a
	s_mov_b32 s10, s0
	s_delay_alu instid0(VALU_DEP_1) | instskip(NEXT) | instid1(VALU_DEP_1)
	v_lshrrev_b16 v117, 9, v117
	v_mul_lo_u16 v118, v117, 3
	s_delay_alu instid0(VALU_DEP_1) | instskip(NEXT) | instid1(VALU_DEP_1)
	v_sub_nc_u16 v118, v164, v118
	v_and_b32_e32 v118, 0xff, v118
	s_delay_alu instid0(VALU_DEP_1)
	v_lshlrev_b32_e32 v119, 5, v118
	s_clause 0x1
	global_load_b128 v[121:124], v119, s[2:3]
	global_load_b128 v[125:128], v119, s[2:3] offset:16
	s_waitcnt vmcnt(1) lgkmcnt(21)
	v_mul_f64 v[119:120], v[106:107], v[123:124]
	scratch_store_b128 off, v[121:124], off offset:624 ; 16-byte Folded Spill
	s_waitcnt vmcnt(0)
	scratch_store_b128 off, v[125:128], off offset:840 ; 16-byte Folded Spill
	v_fma_f64 v[119:120], v[104:105], v[121:122], -v[119:120]
	v_mul_f64 v[104:105], v[104:105], v[123:124]
	s_delay_alu instid0(VALU_DEP_1) | instskip(SKIP_2) | instid1(VALU_DEP_1)
	v_fma_f64 v[104:105], v[106:107], v[121:122], v[104:105]
	s_waitcnt lgkmcnt(19)
	v_mul_f64 v[106:107], v[102:103], v[127:128]
	v_fma_f64 v[106:107], v[100:101], v[125:126], -v[106:107]
	v_mul_f64 v[100:101], v[100:101], v[127:128]
	s_delay_alu instid0(VALU_DEP_1) | instskip(SKIP_1) | instid1(VALU_DEP_1)
	v_fma_f64 v[100:101], v[102:103], v[125:126], v[100:101]
	v_mul_lo_u16 v102, 0xab, v185
	v_lshrrev_b16 v147, 9, v102
	s_delay_alu instid0(VALU_DEP_1) | instskip(NEXT) | instid1(VALU_DEP_1)
	v_mul_lo_u16 v102, v147, 3
	v_sub_nc_u16 v102, v109, v102
	s_delay_alu instid0(VALU_DEP_1) | instskip(NEXT) | instid1(VALU_DEP_1)
	v_and_b32_e32 v148, 0xff, v102
	v_lshlrev_b32_e32 v102, 5, v148
	s_clause 0x1
	global_load_b128 v[121:124], v102, s[2:3]
	global_load_b128 v[125:128], v102, s[2:3] offset:16
	s_waitcnt vmcnt(1)
	v_mul_f64 v[102:103], v[98:99], v[123:124]
	scratch_store_b128 off, v[121:124], off offset:856 ; 16-byte Folded Spill
	s_waitcnt vmcnt(0)
	scratch_store_b128 off, v[125:128], off offset:872 ; 16-byte Folded Spill
	v_fma_f64 v[102:103], v[96:97], v[121:122], -v[102:103]
	v_mul_f64 v[96:97], v[96:97], v[123:124]
	s_delay_alu instid0(VALU_DEP_1) | instskip(SKIP_2) | instid1(VALU_DEP_1)
	v_fma_f64 v[96:97], v[98:99], v[121:122], v[96:97]
	s_waitcnt lgkmcnt(18)
	v_mul_f64 v[98:99], v[94:95], v[127:128]
	v_fma_f64 v[98:99], v[92:93], v[125:126], -v[98:99]
	v_mul_f64 v[92:93], v[92:93], v[127:128]
	s_delay_alu instid0(VALU_DEP_1) | instskip(SKIP_1) | instid1(VALU_DEP_1)
	v_fma_f64 v[92:93], v[94:95], v[125:126], v[92:93]
	v_mul_lo_u16 v94, 0xab, v184
	v_lshrrev_b16 v149, 9, v94
	s_delay_alu instid0(VALU_DEP_1) | instskip(NEXT) | instid1(VALU_DEP_1)
	v_mul_lo_u16 v94, v149, 3
	v_sub_nc_u16 v94, v110, v94
	s_delay_alu instid0(VALU_DEP_1) | instskip(NEXT) | instid1(VALU_DEP_1)
	v_and_b32_e32 v150, 0xff, v94
	v_lshlrev_b32_e32 v94, 5, v150
	s_clause 0x1
	global_load_b128 v[121:124], v94, s[2:3]
	global_load_b128 v[125:128], v94, s[2:3] offset:16
	s_waitcnt vmcnt(1) lgkmcnt(15)
	v_mul_f64 v[94:95], v[90:91], v[123:124]
	scratch_store_b128 off, v[121:124], off offset:904 ; 16-byte Folded Spill
	s_waitcnt vmcnt(0)
	scratch_store_b128 off, v[125:128], off offset:920 ; 16-byte Folded Spill
	v_fma_f64 v[94:95], v[88:89], v[121:122], -v[94:95]
	v_mul_f64 v[88:89], v[88:89], v[123:124]
	s_delay_alu instid0(VALU_DEP_1) | instskip(SKIP_2) | instid1(VALU_DEP_1)
	v_fma_f64 v[88:89], v[90:91], v[121:122], v[88:89]
	s_waitcnt lgkmcnt(13)
	v_mul_f64 v[90:91], v[86:87], v[127:128]
	v_fma_f64 v[90:91], v[84:85], v[125:126], -v[90:91]
	v_mul_f64 v[84:85], v[84:85], v[127:128]
	s_delay_alu instid0(VALU_DEP_1) | instskip(SKIP_1) | instid1(VALU_DEP_1)
	v_fma_f64 v[84:85], v[86:87], v[125:126], v[84:85]
	v_mul_lo_u16 v86, 0xab, v232
	v_lshrrev_b16 v151, 9, v86
	s_delay_alu instid0(VALU_DEP_1) | instskip(NEXT) | instid1(VALU_DEP_1)
	v_mul_lo_u16 v86, v151, 3
	v_sub_nc_u16 v86, v233, v86
	s_delay_alu instid0(VALU_DEP_1) | instskip(NEXT) | instid1(VALU_DEP_1)
	v_and_b32_e32 v152, 0xff, v86
	v_lshlrev_b32_e32 v86, 5, v152
	s_clause 0x1
	global_load_b128 v[121:124], v86, s[2:3]
	global_load_b128 v[125:128], v86, s[2:3] offset:16
	s_waitcnt vmcnt(1)
	v_mul_f64 v[86:87], v[82:83], v[123:124]
	scratch_store_b128 off, v[121:124], off offset:888 ; 16-byte Folded Spill
	s_waitcnt vmcnt(0)
	scratch_store_b128 off, v[125:128], off offset:936 ; 16-byte Folded Spill
	v_fma_f64 v[86:87], v[80:81], v[121:122], -v[86:87]
	v_mul_f64 v[80:81], v[80:81], v[123:124]
	s_delay_alu instid0(VALU_DEP_1) | instskip(SKIP_2) | instid1(VALU_DEP_1)
	v_fma_f64 v[80:81], v[82:83], v[121:122], v[80:81]
	s_waitcnt lgkmcnt(12)
	v_mul_f64 v[82:83], v[78:79], v[127:128]
	v_fma_f64 v[82:83], v[76:77], v[125:126], -v[82:83]
	v_mul_f64 v[76:77], v[76:77], v[127:128]
	s_delay_alu instid0(VALU_DEP_1) | instskip(SKIP_1) | instid1(VALU_DEP_1)
	v_fma_f64 v[77:78], v[78:79], v[125:126], v[76:77]
	v_and_b32_e32 v76, 0xffff, v163
	v_mul_u32_u24_e32 v79, 0xaaab, v76
	s_delay_alu instid0(VALU_DEP_1) | instskip(NEXT) | instid1(VALU_DEP_1)
	v_lshrrev_b32_e32 v153, 17, v79
	v_mul_lo_u16 v79, v153, 3
	s_delay_alu instid0(VALU_DEP_1) | instskip(NEXT) | instid1(VALU_DEP_1)
	v_sub_nc_u16 v154, v163, v79
	v_lshlrev_b16 v79, 1, v154
	s_delay_alu instid0(VALU_DEP_1) | instskip(NEXT) | instid1(VALU_DEP_1)
	v_and_b32_e32 v79, 0xffff, v79
	v_lshlrev_b32_e32 v79, 4, v79
	s_clause 0x1
	global_load_b128 v[123:126], v79, s[2:3]
	global_load_b128 v[127:130], v79, s[2:3] offset:16
	s_waitcnt vmcnt(1) lgkmcnt(9)
	v_mul_f64 v[121:122], v[74:75], v[125:126]
	scratch_store_b128 off, v[123:126], off offset:952 ; 16-byte Folded Spill
	s_waitcnt vmcnt(0)
	scratch_store_b128 off, v[127:130], off offset:968 ; 16-byte Folded Spill
	v_fma_f64 v[121:122], v[72:73], v[123:124], -v[121:122]
	v_mul_f64 v[72:73], v[72:73], v[125:126]
	s_delay_alu instid0(VALU_DEP_1) | instskip(SKIP_2) | instid1(VALU_DEP_1)
	v_fma_f64 v[123:124], v[74:75], v[123:124], v[72:73]
	s_waitcnt lgkmcnt(7)
	v_mul_f64 v[72:73], v[70:71], v[129:130]
	v_fma_f64 v[125:126], v[68:69], v[127:128], -v[72:73]
	v_mul_f64 v[68:69], v[68:69], v[129:130]
	s_delay_alu instid0(VALU_DEP_1) | instskip(SKIP_1) | instid1(VALU_DEP_1)
	v_fma_f64 v[127:128], v[70:71], v[127:128], v[68:69]
	v_and_b32_e32 v68, 0xffff, v116
	v_mul_u32_u24_e32 v68, 0xaaab, v68
	s_delay_alu instid0(VALU_DEP_1) | instskip(NEXT) | instid1(VALU_DEP_1)
	v_lshrrev_b32_e32 v155, 17, v68
	v_mul_lo_u16 v68, v155, 3
	s_delay_alu instid0(VALU_DEP_1) | instskip(NEXT) | instid1(VALU_DEP_1)
	v_sub_nc_u16 v156, v116, v68
	v_lshlrev_b16 v68, 1, v156
	s_delay_alu instid0(VALU_DEP_1) | instskip(NEXT) | instid1(VALU_DEP_1)
	v_and_b32_e32 v68, 0xffff, v68
	v_lshlrev_b32_e32 v68, 4, v68
	s_clause 0x1
	global_load_b128 v[70:73], v68, s[2:3]
	global_load_b128 v[135:138], v68, s[2:3] offset:16
	s_waitcnt vmcnt(1)
	v_mul_f64 v[68:69], v[10:11], v[72:73]
	scratch_store_b128 off, v[70:73], off offset:984 ; 16-byte Folded Spill
	s_waitcnt vmcnt(0)
	scratch_store_b128 off, v[135:138], off offset:1000 ; 16-byte Folded Spill
	v_fma_f64 v[129:130], v[8:9], v[70:71], -v[68:69]
	v_mul_f64 v[8:9], v[8:9], v[72:73]
	v_add_f64 v[72:73], v[94:95], -v[90:91]
	s_delay_alu instid0(VALU_DEP_2) | instskip(SKIP_2) | instid1(VALU_DEP_1)
	v_fma_f64 v[131:132], v[10:11], v[70:71], v[8:9]
	s_waitcnt lgkmcnt(6)
	v_mul_f64 v[8:9], v[2:3], v[137:138]
	v_fma_f64 v[133:134], v[0:1], v[135:136], -v[8:9]
	v_mul_f64 v[0:1], v[0:1], v[137:138]
	s_delay_alu instid0(VALU_DEP_1) | instskip(SKIP_1) | instid1(VALU_DEP_1)
	v_fma_f64 v[135:136], v[2:3], v[135:136], v[0:1]
	v_and_b32_e32 v0, 0xffff, v114
	v_mul_u32_u24_e32 v0, 0xaaab, v0
	s_delay_alu instid0(VALU_DEP_1) | instskip(NEXT) | instid1(VALU_DEP_1)
	v_lshrrev_b32_e32 v157, 17, v0
	v_mul_lo_u16 v0, v157, 3
	s_delay_alu instid0(VALU_DEP_1) | instskip(NEXT) | instid1(VALU_DEP_1)
	v_sub_nc_u16 v158, v114, v0
	v_lshlrev_b16 v0, 1, v158
	s_delay_alu instid0(VALU_DEP_1) | instskip(NEXT) | instid1(VALU_DEP_1)
	v_and_b32_e32 v0, 0xffff, v0
	v_lshlrev_b32_e32 v0, 4, v0
	s_clause 0x1
	global_load_b128 v[8:11], v0, s[2:3]
	global_load_b128 v[68:71], v0, s[2:3] offset:16
	s_waitcnt vmcnt(1) lgkmcnt(3)
	v_mul_f64 v[0:1], v[66:67], v[10:11]
	scratch_store_b128 off, v[8:11], off offset:1048 ; 16-byte Folded Spill
	s_waitcnt vmcnt(0)
	scratch_store_b128 off, v[68:71], off offset:1080 ; 16-byte Folded Spill
	v_fma_f64 v[137:138], v[64:65], v[8:9], -v[0:1]
	v_mul_f64 v[0:1], v[64:65], v[10:11]
	s_delay_alu instid0(VALU_DEP_1) | instskip(SKIP_2) | instid1(VALU_DEP_1)
	v_fma_f64 v[64:65], v[66:67], v[8:9], v[0:1]
	s_waitcnt lgkmcnt(1)
	v_mul_f64 v[0:1], v[14:15], v[70:71]
	v_fma_f64 v[66:67], v[12:13], v[68:69], -v[0:1]
	v_mul_f64 v[0:1], v[12:13], v[70:71]
	s_delay_alu instid0(VALU_DEP_1) | instskip(SKIP_2) | instid1(VALU_DEP_2)
	v_fma_f64 v[139:140], v[14:15], v[68:69], v[0:1]
	v_and_b32_e32 v0, 0xffff, v115
	v_add_f64 v[68:69], v[88:89], -v[84:85]
	v_mul_u32_u24_e32 v0, 0xaaab, v0
	s_delay_alu instid0(VALU_DEP_1) | instskip(NEXT) | instid1(VALU_DEP_1)
	v_lshrrev_b32_e32 v159, 17, v0
	v_mul_lo_u16 v0, v159, 3
	s_delay_alu instid0(VALU_DEP_1) | instskip(NEXT) | instid1(VALU_DEP_1)
	v_sub_nc_u16 v160, v115, v0
	v_lshlrev_b16 v0, 1, v160
	s_delay_alu instid0(VALU_DEP_1) | instskip(NEXT) | instid1(VALU_DEP_1)
	v_and_b32_e32 v0, 0xffff, v0
	v_lshlrev_b32_e32 v0, 4, v0
	s_clause 0x1
	global_load_b128 v[12:15], v0, s[2:3]
	global_load_b128 v[8:11], v0, s[2:3] offset:16
	s_waitcnt vmcnt(1)
	v_mul_f64 v[0:1], v[62:63], v[14:15]
	scratch_store_b128 off, v[12:15], off offset:1096 ; 16-byte Folded Spill
	s_waitcnt vmcnt(0)
	scratch_store_b128 off, v[8:11], off offset:1016 ; 16-byte Folded Spill
	v_fma_f64 v[114:115], v[60:61], v[12:13], -v[0:1]
	v_mul_f64 v[0:1], v[60:61], v[14:15]
	v_add_f64 v[60:61], v[102:103], -v[98:99]
	s_delay_alu instid0(VALU_DEP_2) | instskip(SKIP_3) | instid1(VALU_DEP_2)
	v_fma_f64 v[141:142], v[62:63], v[12:13], v[0:1]
	s_waitcnt lgkmcnt(0)
	v_mul_f64 v[0:1], v[6:7], v[10:11]
	v_add_f64 v[12:13], v[56:57], v[119:120]
	v_fma_f64 v[143:144], v[4:5], v[8:9], -v[0:1]
	v_mul_f64 v[0:1], v[4:5], v[10:11]
	s_delay_alu instid0(VALU_DEP_1) | instskip(SKIP_1) | instid1(VALU_DEP_1)
	v_fma_f64 v[145:146], v[6:7], v[8:9], v[0:1]
	v_and_b32_e32 v0, 0xffff, v113
	v_mul_u32_u24_e32 v0, 0xaaab, v0
	s_delay_alu instid0(VALU_DEP_1) | instskip(NEXT) | instid1(VALU_DEP_1)
	v_lshrrev_b32_e32 v161, 17, v0
	v_mul_lo_u16 v0, v161, 3
	s_delay_alu instid0(VALU_DEP_1) | instskip(NEXT) | instid1(VALU_DEP_1)
	v_sub_nc_u16 v162, v113, v0
	v_lshlrev_b16 v0, 1, v162
	s_delay_alu instid0(VALU_DEP_1) | instskip(NEXT) | instid1(VALU_DEP_1)
	v_and_b32_e32 v0, 0xffff, v0
	v_lshlrev_b32_e32 v0, 4, v0
	s_clause 0x1
	global_load_b128 v[4:7], v0, s[2:3]
	global_load_b128 v[8:11], v0, s[2:3] offset:16
	s_waitcnt vmcnt(1)
	v_mul_f64 v[0:1], v[22:23], v[6:7]
	v_mul_f64 v[2:3], v[20:21], v[6:7]
	scratch_store_b128 off, v[4:7], off offset:1032 ; 16-byte Folded Spill
	s_waitcnt vmcnt(0)
	scratch_store_b128 off, v[8:11], off offset:1064 ; 16-byte Folded Spill
	s_waitcnt_vscnt null, 0x0
	s_barrier
	buffer_gl0_inv
	v_fma_f64 v[0:1], v[20:21], v[4:5], -v[0:1]
	v_fma_f64 v[6:7], v[22:23], v[4:5], v[2:3]
	v_mul_f64 v[2:3], v[26:27], v[10:11]
	v_mul_f64 v[4:5], v[24:25], v[10:11]
	v_add_f64 v[20:21], v[104:105], -v[100:101]
	s_delay_alu instid0(VALU_DEP_3) | instskip(NEXT) | instid1(VALU_DEP_3)
	v_fma_f64 v[2:3], v[24:25], v[8:9], -v[2:3]
	v_fma_f64 v[4:5], v[26:27], v[8:9], v[4:5]
	v_add_f64 v[8:9], v[119:120], v[106:107]
	v_add_f64 v[24:25], v[119:120], -v[106:107]
	s_delay_alu instid0(VALU_DEP_2) | instskip(SKIP_1) | instid1(VALU_DEP_1)
	v_fma_f64 v[14:15], v[8:9], -0.5, v[56:57]
	v_add_f64 v[8:9], v[104:105], v[100:101]
	v_fma_f64 v[22:23], v[8:9], -0.5, v[58:59]
	v_add_f64 v[8:9], v[58:59], v[104:105]
	s_delay_alu instid0(VALU_DEP_1)
	v_add_f64 v[10:11], v[8:9], v[100:101]
	v_add_f64 v[8:9], v[12:13], v[106:107]
	v_fma_f64 v[12:13], v[20:21], s[0:1], v[14:15]
	v_fma_f64 v[20:21], v[20:21], s[10:11], v[14:15]
	;; [unrolled: 1-line block ×4, first 2 shown]
	v_add_f64 v[24:25], v[102:103], v[98:99]
	v_add_f64 v[105:106], v[141:142], -v[145:146]
	s_delay_alu instid0(VALU_DEP_2) | instskip(SKIP_2) | instid1(VALU_DEP_2)
	v_fma_f64 v[56:57], v[24:25], -0.5, v[52:53]
	v_add_f64 v[24:25], v[96:97], v[92:93]
	v_add_f64 v[52:53], v[52:53], v[102:103]
	v_fma_f64 v[58:59], v[24:25], -0.5, v[54:55]
	v_add_f64 v[24:25], v[54:55], v[96:97]
	v_add_f64 v[54:55], v[96:97], -v[92:93]
	s_delay_alu instid0(VALU_DEP_2) | instskip(SKIP_1) | instid1(VALU_DEP_3)
	v_add_f64 v[26:27], v[24:25], v[92:93]
	v_add_f64 v[24:25], v[52:53], v[98:99]
	v_fma_f64 v[52:53], v[54:55], s[0:1], v[56:57]
	v_fma_f64 v[56:57], v[54:55], s[10:11], v[56:57]
	;; [unrolled: 1-line block ×4, first 2 shown]
	v_add_f64 v[60:61], v[94:95], v[90:91]
	v_add_f64 v[97:98], v[129:130], -v[133:134]
	s_delay_alu instid0(VALU_DEP_2) | instskip(SKIP_3) | instid1(VALU_DEP_3)
	v_fma_f64 v[62:63], v[60:61], -0.5, v[48:49]
	v_add_f64 v[60:61], v[88:89], v[84:85]
	v_add_f64 v[48:49], v[48:49], v[94:95]
	v_add_f64 v[93:94], v[131:132], -v[135:136]
	v_fma_f64 v[70:71], v[60:61], -0.5, v[50:51]
	v_fma_f64 v[60:61], v[68:69], s[0:1], v[62:63]
	v_fma_f64 v[68:69], v[68:69], s[10:11], v[62:63]
	v_add_f64 v[50:51], v[50:51], v[88:89]
	v_add_f64 v[48:49], v[48:49], v[90:91]
	v_add_f64 v[89:90], v[121:122], -v[125:126]
	v_fma_f64 v[62:63], v[72:73], s[10:11], v[70:71]
	v_fma_f64 v[70:71], v[72:73], s[0:1], v[70:71]
	v_add_f64 v[72:73], v[86:87], v[82:83]
	v_add_f64 v[50:51], v[50:51], v[84:85]
	s_delay_alu instid0(VALU_DEP_2) | instskip(SKIP_2) | instid1(VALU_DEP_2)
	v_fma_f64 v[74:75], v[72:73], -0.5, v[44:45]
	v_add_f64 v[72:73], v[80:81], v[77:78]
	v_add_f64 v[44:45], v[44:45], v[86:87]
	v_fma_f64 v[84:85], v[72:73], -0.5, v[46:47]
	v_add_f64 v[46:47], v[46:47], v[80:81]
	v_add_f64 v[79:80], v[80:81], -v[77:78]
	s_delay_alu instid0(VALU_DEP_4) | instskip(SKIP_1) | instid1(VALU_DEP_4)
	v_add_f64 v[44:45], v[44:45], v[82:83]
	v_add_f64 v[81:82], v[86:87], -v[82:83]
	v_add_f64 v[46:47], v[46:47], v[77:78]
	s_delay_alu instid0(VALU_DEP_4) | instskip(SKIP_1) | instid1(VALU_DEP_4)
	v_fma_f64 v[72:73], v[79:80], s[0:1], v[74:75]
	v_fma_f64 v[77:78], v[79:80], s[10:11], v[74:75]
	;; [unrolled: 1-line block ×4, first 2 shown]
	v_add_f64 v[81:82], v[121:122], v[125:126]
	v_add_f64 v[85:86], v[123:124], -v[127:128]
	s_delay_alu instid0(VALU_DEP_2) | instskip(SKIP_3) | instid1(VALU_DEP_3)
	v_fma_f64 v[83:84], v[81:82], -0.5, v[40:41]
	v_add_f64 v[81:82], v[123:124], v[127:128]
	v_add_f64 v[40:41], v[40:41], v[121:122]
	v_add_f64 v[121:122], v[114:115], -v[143:144]
	v_fma_f64 v[87:88], v[81:82], -0.5, v[42:43]
	v_fma_f64 v[81:82], v[85:86], s[0:1], v[83:84]
	v_fma_f64 v[85:86], v[85:86], s[10:11], v[83:84]
	v_add_f64 v[42:43], v[42:43], v[123:124]
	v_add_f64 v[40:41], v[40:41], v[125:126]
	v_fma_f64 v[83:84], v[89:90], s[10:11], v[87:88]
	v_fma_f64 v[87:88], v[89:90], s[0:1], v[87:88]
	v_add_f64 v[89:90], v[129:130], v[133:134]
	v_add_f64 v[42:43], v[42:43], v[127:128]
	s_delay_alu instid0(VALU_DEP_2) | instskip(SKIP_2) | instid1(VALU_DEP_2)
	v_fma_f64 v[91:92], v[89:90], -0.5, v[36:37]
	v_add_f64 v[89:90], v[131:132], v[135:136]
	v_add_f64 v[36:37], v[36:37], v[129:130]
	v_fma_f64 v[95:96], v[89:90], -0.5, v[38:39]
	s_delay_alu instid0(VALU_DEP_4)
	v_fma_f64 v[89:90], v[93:94], s[0:1], v[91:92]
	v_fma_f64 v[93:94], v[93:94], s[10:11], v[91:92]
	v_add_f64 v[38:39], v[38:39], v[131:132]
	v_add_f64 v[36:37], v[36:37], v[133:134]
	v_fma_f64 v[91:92], v[97:98], s[10:11], v[95:96]
	v_fma_f64 v[95:96], v[97:98], s[0:1], v[95:96]
	v_add_f64 v[97:98], v[137:138], v[66:67]
	v_add_f64 v[38:39], v[38:39], v[135:136]
	s_delay_alu instid0(VALU_DEP_2) | instskip(SKIP_2) | instid1(VALU_DEP_2)
	v_fma_f64 v[99:100], v[97:98], -0.5, v[32:33]
	v_add_f64 v[97:98], v[64:65], v[139:140]
	v_add_f64 v[32:33], v[32:33], v[137:138]
	v_fma_f64 v[103:104], v[97:98], -0.5, v[34:35]
	v_add_f64 v[34:35], v[34:35], v[64:65]
	v_add_f64 v[64:65], v[64:65], -v[139:140]
	s_delay_alu instid0(VALU_DEP_4) | instskip(SKIP_1) | instid1(VALU_DEP_4)
	v_add_f64 v[32:33], v[32:33], v[66:67]
	v_add_f64 v[66:67], v[137:138], -v[66:67]
	v_add_f64 v[34:35], v[34:35], v[139:140]
	s_delay_alu instid0(VALU_DEP_4)
	v_fma_f64 v[97:98], v[64:65], s[0:1], v[99:100]
	v_fma_f64 v[101:102], v[64:65], s[10:11], v[99:100]
	v_add_f64 v[64:65], v[114:115], v[143:144]
	v_fma_f64 v[99:100], v[66:67], s[10:11], v[103:104]
	v_fma_f64 v[103:104], v[66:67], s[0:1], v[103:104]
	v_add_f64 v[66:67], v[141:142], v[145:146]
	s_delay_alu instid0(VALU_DEP_4) | instskip(SKIP_1) | instid1(VALU_DEP_3)
	v_fma_f64 v[64:65], v[64:65], -0.5, v[28:29]
	v_add_f64 v[28:29], v[28:29], v[114:115]
	v_fma_f64 v[66:67], v[66:67], -0.5, v[30:31]
	v_add_f64 v[30:31], v[30:31], v[141:142]
	s_delay_alu instid0(VALU_DEP_4)
	v_fma_f64 v[113:114], v[105:106], s[0:1], v[64:65]
	v_fma_f64 v[119:120], v[105:106], s[10:11], v[64:65]
	v_add_f64 v[64:65], v[0:1], v[2:3]
	v_fma_f64 v[115:116], v[121:122], s[10:11], v[66:67]
	v_fma_f64 v[121:122], v[121:122], s[0:1], v[66:67]
	v_add_f64 v[66:67], v[6:7], v[4:5]
	v_add_f64 v[105:106], v[6:7], -v[4:5]
	v_add_f64 v[30:31], v[30:31], v[145:146]
	v_add_f64 v[28:29], v[28:29], v[143:144]
	v_fma_f64 v[64:65], v[64:65], -0.5, v[16:17]
	v_fma_f64 v[66:67], v[66:67], -0.5, v[18:19]
	s_delay_alu instid0(VALU_DEP_2) | instskip(SKIP_2) | instid1(VALU_DEP_1)
	v_fma_f64 v[228:229], v[105:106], s[0:1], v[64:65]
	v_fma_f64 v[64:65], v[105:106], s[10:11], v[64:65]
	v_add_f64 v[105:106], v[0:1], -v[2:3]
	v_fma_f64 v[230:231], v[105:106], s[10:11], v[66:67]
	v_fma_f64 v[66:67], v[105:106], s[0:1], v[66:67]
	v_and_b32_e32 v105, 0xffff, v117
	s_delay_alu instid0(VALU_DEP_1) | instskip(NEXT) | instid1(VALU_DEP_1)
	v_mul_u32_u24_e32 v105, 9, v105
	v_add_lshl_u32 v105, v105, v118, 4
	ds_store_b128 v105, v[8:11]
	ds_store_b128 v105, v[12:15] offset:48
	v_and_b32_e32 v8, 0xffff, v147
	scratch_store_b32 off, v105, off offset:708 ; 4-byte Folded Spill
	ds_store_b128 v105, v[20:23] offset:96
	v_mul_u32_u24_e32 v8, 9, v8
	s_delay_alu instid0(VALU_DEP_1)
	v_add_lshl_u32 v8, v8, v148, 4
	ds_store_b128 v8, v[24:27]
	ds_store_b128 v8, v[52:55] offset:48
	scratch_store_b32 off, v8, off offset:688 ; 4-byte Folded Spill
	ds_store_b128 v8, v[56:59] offset:96
	v_and_b32_e32 v8, 0xffff, v149
	s_delay_alu instid0(VALU_DEP_1) | instskip(NEXT) | instid1(VALU_DEP_1)
	v_mul_u32_u24_e32 v8, 9, v8
	v_add_lshl_u32 v8, v8, v150, 4
	ds_store_b128 v8, v[48:51]
	ds_store_b128 v8, v[60:63] offset:48
	scratch_store_b32 off, v8, off offset:684 ; 4-byte Folded Spill
	ds_store_b128 v8, v[68:71] offset:96
	v_and_b32_e32 v8, 0xffff, v151
	s_delay_alu instid0(VALU_DEP_1) | instskip(NEXT) | instid1(VALU_DEP_1)
	v_mul_u32_u24_e32 v8, 9, v8
	v_add_lshl_u32 v8, v8, v152, 4
	ds_store_b128 v8, v[44:47]
	ds_store_b128 v8, v[72:75] offset:48
	scratch_store_b32 off, v8, off offset:680 ; 4-byte Folded Spill
	ds_store_b128 v8, v[77:80] offset:96
	v_mad_u16 v8, v153, 9, v154
	s_delay_alu instid0(VALU_DEP_1) | instskip(NEXT) | instid1(VALU_DEP_1)
	v_and_b32_e32 v8, 0xffff, v8
	v_lshlrev_b32_e32 v8, 4, v8
	ds_store_b128 v8, v[40:43]
	ds_store_b128 v8, v[81:84] offset:48
	scratch_store_b32 off, v8, off offset:676 ; 4-byte Folded Spill
	ds_store_b128 v8, v[85:88] offset:96
	v_mad_u16 v8, v155, 9, v156
	s_delay_alu instid0(VALU_DEP_1) | instskip(NEXT) | instid1(VALU_DEP_1)
	v_and_b32_e32 v8, 0xffff, v8
	v_lshlrev_b32_e32 v8, 4, v8
	;; [unrolled: 8-line block ×4, first 2 shown]
	v_mad_u16 v8, v161, 9, v162
	ds_store_b128 v9, v[28:31]
	ds_store_b128 v9, v[113:116] offset:48
	s_clause 0x1
	scratch_store_b32 off, v8, off offset:644
	scratch_store_b32 off, v9, off offset:648
	ds_store_b128 v9, v[119:122] offset:96
	s_and_saveexec_b32 s0, vcc_lo
	s_cbranch_execz .LBB0_11
; %bb.10:
	v_add_f64 v[0:1], v[16:17], v[0:1]
	v_add_f64 v[6:7], v[18:19], v[6:7]
	s_delay_alu instid0(VALU_DEP_2) | instskip(SKIP_4) | instid1(VALU_DEP_1)
	v_add_f64 v[2:3], v[0:1], v[2:3]
	scratch_load_b32 v0, off, off offset:644 ; 4-byte Folded Reload
	v_add_f64 v[4:5], v[6:7], v[4:5]
	s_waitcnt vmcnt(0)
	v_and_b32_e32 v0, 0xffff, v0
	v_lshlrev_b32_e32 v0, 4, v0
	ds_store_b128 v0, v[2:5]
	ds_store_b128 v0, v[228:231] offset:48
	ds_store_b128 v0, v[64:67] offset:96
.LBB0_11:
	s_or_b32 exec_lo, exec_lo, s0
	v_mul_lo_u16 v0, v112, 57
	v_mul_lo_u16 v1, v185, 57
	;; [unrolled: 1-line block ×3, first 2 shown]
	s_waitcnt lgkmcnt(0)
	s_waitcnt_vscnt null, 0x0
	s_barrier
	v_lshrrev_b16 v0, 9, v0
	v_lshrrev_b16 v1, 9, v1
	buffer_gl0_inv
	s_mov_b32 s12, 0x134454ff
	s_mov_b32 s13, 0x3fee6f0e
	v_mul_lo_u16 v2, v0, 9
	v_mul_lo_u16 v3, v1, 9
	s_mov_b32 s15, 0xbfee6f0e
	s_mov_b32 s14, s12
	;; [unrolled: 1-line block ×3, first 2 shown]
	v_sub_nc_u16 v2, v164, v2
	v_sub_nc_u16 v3, v109, v3
	s_mov_b32 s16, 0x372fe950
	s_mov_b32 s17, 0x3fd3c6ef
	v_and_b32_e32 v0, 0xffff, v0
	v_and_b32_e32 v5, 0xff, v2
	;; [unrolled: 1-line block ×3, first 2 shown]
	v_lshrrev_b16 v2, 9, v4
                                        ; implicit-def: $vgpr172_vgpr173
	s_delay_alu instid0(VALU_DEP_4) | instskip(NEXT) | instid1(VALU_DEP_4)
	v_mul_u32_u24_e32 v0, 45, v0
	v_lshlrev_b32_e32 v7, 6, v5
	s_delay_alu instid0(VALU_DEP_4) | instskip(NEXT) | instid1(VALU_DEP_4)
	v_lshlrev_b32_e32 v8, 6, v3
	v_mul_lo_u16 v4, v2, 9
	s_clause 0x1
	global_load_b128 v[81:84], v7, s[2:3] offset:96
	global_load_b128 v[70:73], v8, s[2:3] offset:96
	v_add_lshl_u32 v0, v0, v5, 4
	v_sub_nc_u16 v4, v110, v4
	s_delay_alu instid0(VALU_DEP_1) | instskip(NEXT) | instid1(VALU_DEP_1)
	v_and_b32_e32 v4, 0xff, v4
	v_lshlrev_b32_e32 v6, 6, v4
	s_clause 0x7
	global_load_b128 v[77:80], v6, s[2:3] offset:96
	global_load_b128 v[85:88], v7, s[2:3] offset:112
	global_load_b128 v[89:92], v7, s[2:3] offset:128
	global_load_b128 v[100:103], v7, s[2:3] offset:144
	global_load_b128 v[104:107], v8, s[2:3] offset:112
	global_load_b128 v[112:115], v8, s[2:3] offset:128
	global_load_b128 v[116:119], v6, s[2:3] offset:112
	global_load_b128 v[120:123], v8, s[2:3] offset:144
	ds_load_b128 v[24:27], v108 offset:5040
	ds_load_b128 v[20:23], v108 offset:6048
	;; [unrolled: 1-line block ×10, first 2 shown]
	s_waitcnt vmcnt(9) lgkmcnt(9)
	v_mul_f64 v[44:45], v[26:27], v[83:84]
	v_mul_f64 v[46:47], v[24:25], v[83:84]
	s_waitcnt vmcnt(8) lgkmcnt(8)
	v_mul_f64 v[48:49], v[22:23], v[72:73]
	v_mul_f64 v[50:51], v[20:21], v[72:73]
	s_clause 0x1
	scratch_store_b128 off, v[70:73], off offset:432
	scratch_store_b128 off, v[81:84], off offset:464
	s_waitcnt vmcnt(7) lgkmcnt(7)
	v_mul_f64 v[56:57], v[18:19], v[79:80]
	s_waitcnt vmcnt(6)
	scratch_store_b128 off, v[85:88], off offset:480 ; 16-byte Folded Spill
	v_mul_f64 v[58:59], v[16:17], v[79:80]
	s_waitcnt lgkmcnt(5)
	v_mul_f64 v[60:61], v[13:14], v[87:88]
	v_mul_f64 v[62:63], v[11:12], v[87:88]
	s_waitcnt vmcnt(5) lgkmcnt(4)
	v_mul_f64 v[68:69], v[30:31], v[91:92]
	s_waitcnt vmcnt(3)
	scratch_store_b128 off, v[104:107], off offset:528 ; 16-byte Folded Spill
	s_waitcnt vmcnt(2)
	s_clause 0x3
	scratch_store_b128 off, v[112:115], off offset:544
	scratch_store_b128 off, v[77:80], off offset:448
	;; [unrolled: 1-line block ×4, first 2 shown]
	s_waitcnt vmcnt(1)
	scratch_store_b128 off, v[116:119], off offset:564 ; 16-byte Folded Spill
	s_waitcnt vmcnt(0)
	scratch_store_b128 off, v[120:123], off offset:580 ; 16-byte Folded Spill
	v_fma_f64 v[44:45], v[24:25], v[81:82], -v[44:45]
	v_fma_f64 v[46:47], v[26:27], v[81:82], v[46:47]
	v_mul_f64 v[24:25], v[28:29], v[91:92]
	s_waitcnt lgkmcnt(3)
	v_mul_f64 v[26:27], v[34:35], v[102:103]
	v_fma_f64 v[48:49], v[20:21], v[70:71], -v[48:49]
	v_fma_f64 v[50:51], v[22:23], v[70:71], v[50:51]
	v_mul_f64 v[20:21], v[32:33], v[102:103]
	s_waitcnt lgkmcnt(2)
	v_mul_f64 v[22:23], v[38:39], v[106:107]
	v_fma_f64 v[96:97], v[16:17], v[77:78], -v[56:57]
	v_fma_f64 v[98:99], v[18:19], v[77:78], v[58:59]
	ds_load_b128 v[15:18], v108 offset:16128
	v_fma_f64 v[56:57], v[11:12], v[85:86], -v[60:61]
	v_fma_f64 v[58:59], v[13:14], v[85:86], v[62:63]
	ds_load_b128 v[11:14], v108 offset:17136
	v_mul_f64 v[60:61], v[36:37], v[106:107]
	v_fma_f64 v[28:29], v[28:29], v[89:90], -v[68:69]
	v_fma_f64 v[30:31], v[30:31], v[89:90], v[24:25]
	s_waitcnt lgkmcnt(1)
	v_mul_f64 v[24:25], v[17:18], v[114:115]
	v_fma_f64 v[32:33], v[32:33], v[100:101], -v[26:27]
	v_mul_f64 v[26:27], v[15:16], v[114:115]
	v_fma_f64 v[34:35], v[34:35], v[100:101], v[20:21]
	v_fma_f64 v[36:37], v[36:37], v[104:105], -v[22:23]
	ds_load_b128 v[19:22], v108 offset:12096
	v_fma_f64 v[38:39], v[38:39], v[104:105], v[60:61]
	v_add_f64 v[78:79], v[56:57], -v[28:29]
	v_fma_f64 v[72:73], v[15:16], v[112:113], -v[24:25]
	v_fma_f64 v[74:75], v[17:18], v[112:113], v[26:27]
	ds_load_b128 v[15:18], v108 offset:13104
	s_waitcnt lgkmcnt(1)
	v_mul_f64 v[23:24], v[21:22], v[118:119]
	s_delay_alu instid0(VALU_DEP_1) | instskip(SKIP_1) | instid1(VALU_DEP_1)
	v_fma_f64 v[104:105], v[19:20], v[116:117], -v[23:24]
	v_mul_f64 v[19:20], v[19:20], v[118:119]
	v_fma_f64 v[106:107], v[21:22], v[116:117], v[19:20]
	s_clause 0x1
	global_load_b128 v[21:24], v6, s[2:3] offset:128
	global_load_b128 v[60:63], v6, s[2:3] offset:144
	v_mul_f64 v[19:20], v[42:43], v[122:123]
	v_mul_lo_u16 v6, v232, 57
	s_delay_alu instid0(VALU_DEP_1) | instskip(NEXT) | instid1(VALU_DEP_1)
	v_lshrrev_b16 v160, 9, v6
	v_mul_lo_u16 v6, v160, 9
	s_delay_alu instid0(VALU_DEP_1) | instskip(NEXT) | instid1(VALU_DEP_1)
	v_sub_nc_u16 v6, v233, v6
	v_and_b32_e32 v161, 0xff, v6
	s_delay_alu instid0(VALU_DEP_1) | instskip(SKIP_2) | instid1(VALU_DEP_1)
	v_lshlrev_b32_e32 v6, 6, v161
	v_fma_f64 v[80:81], v[40:41], v[120:121], -v[19:20]
	v_mul_f64 v[19:20], v[40:41], v[122:123]
	v_fma_f64 v[40:41], v[42:43], v[120:121], v[19:20]
	s_waitcnt vmcnt(1)
	v_mul_f64 v[19:20], v[13:14], v[23:24]
	scratch_store_b128 off, v[21:24], off offset:1148 ; 16-byte Folded Spill
	v_fma_f64 v[42:43], v[11:12], v[21:22], -v[19:20]
	v_mul_f64 v[11:12], v[11:12], v[23:24]
	s_delay_alu instid0(VALU_DEP_1)
	v_fma_f64 v[112:113], v[13:14], v[21:22], v[11:12]
	ds_load_b128 v[11:14], v108 offset:22176
	ds_load_b128 v[19:22], v108 offset:23184
	s_waitcnt vmcnt(0)
	scratch_store_b128 off, v[60:63], off offset:1132 ; 16-byte Folded Spill
	s_clause 0x1
	global_load_b128 v[82:85], v6, s[2:3] offset:96
	global_load_b128 v[68:71], v6, s[2:3] offset:112
	s_waitcnt lgkmcnt(1)
	v_mul_f64 v[23:24], v[13:14], v[62:63]
	s_delay_alu instid0(VALU_DEP_1) | instskip(SKIP_1) | instid1(VALU_DEP_1)
	v_fma_f64 v[114:115], v[11:12], v[60:61], -v[23:24]
	v_mul_f64 v[11:12], v[11:12], v[62:63]
	v_fma_f64 v[116:117], v[13:14], v[60:61], v[11:12]
	ds_load_b128 v[11:14], v108 offset:8064
	ds_load_b128 v[23:26], v108 offset:9072
	s_waitcnt vmcnt(1) lgkmcnt(1)
	v_mul_f64 v[60:61], v[13:14], v[84:85]
	scratch_store_b128 off, v[82:85], off offset:1196 ; 16-byte Folded Spill
	s_waitcnt vmcnt(0)
	scratch_store_b128 off, v[68:71], off offset:1164 ; 16-byte Folded Spill
	v_fma_f64 v[128:129], v[11:12], v[82:83], -v[60:61]
	v_mul_f64 v[11:12], v[11:12], v[84:85]
	s_delay_alu instid0(VALU_DEP_1) | instskip(SKIP_1) | instid1(VALU_DEP_1)
	v_fma_f64 v[130:131], v[13:14], v[82:83], v[11:12]
	v_mul_f64 v[11:12], v[17:18], v[70:71]
	v_fma_f64 v[136:137], v[15:16], v[68:69], -v[11:12]
	v_mul_f64 v[11:12], v[15:16], v[70:71]
	s_delay_alu instid0(VALU_DEP_1)
	v_fma_f64 v[138:139], v[17:18], v[68:69], v[11:12]
	s_clause 0x1
	global_load_b128 v[82:85], v6, s[2:3] offset:128
	global_load_b128 v[68:71], v6, s[2:3] offset:144
	ds_load_b128 v[11:14], v108 offset:18144
	ds_load_b128 v[15:18], v108 offset:19152
	v_mul_u32_u24_e32 v6, 0xe38f, v76
	scratch_store_b32 off, v163, off offset:1384 ; 4-byte Folded Spill
	v_add_f64 v[76:77], v[44:45], -v[32:33]
	v_lshrrev_b32_e32 v162, 19, v6
	s_delay_alu instid0(VALU_DEP_1) | instskip(NEXT) | instid1(VALU_DEP_1)
	v_mul_lo_u16 v6, v162, 9
	v_sub_nc_u16 v163, v163, v6
	s_delay_alu instid0(VALU_DEP_1) | instskip(NEXT) | instid1(VALU_DEP_1)
	v_lshlrev_b16 v6, 6, v163
	v_and_b32_e32 v6, 0xffff, v6
	s_waitcnt vmcnt(1) lgkmcnt(1)
	v_mul_f64 v[60:61], v[13:14], v[84:85]
	scratch_store_b128 off, v[82:85], off offset:1212 ; 16-byte Folded Spill
	s_waitcnt vmcnt(0)
	scratch_store_b128 off, v[68:71], off offset:1180 ; 16-byte Folded Spill
	v_fma_f64 v[140:141], v[11:12], v[82:83], -v[60:61]
	v_mul_f64 v[11:12], v[11:12], v[84:85]
	v_add_f64 v[84:85], v[36:37], -v[72:73]
	s_delay_alu instid0(VALU_DEP_2) | instskip(SKIP_2) | instid1(VALU_DEP_2)
	v_fma_f64 v[142:143], v[13:14], v[82:83], v[11:12]
	v_mul_f64 v[11:12], v[21:22], v[70:71]
	v_add_f64 v[82:83], v[48:49], -v[80:81]
	v_fma_f64 v[144:145], v[19:20], v[68:69], -v[11:12]
	v_mul_f64 v[11:12], v[19:20], v[70:71]
	v_add_f64 v[70:71], v[58:59], -v[30:31]
	s_delay_alu instid0(VALU_DEP_2) | instskip(SKIP_1) | instid1(VALU_DEP_1)
	v_fma_f64 v[146:147], v[21:22], v[68:69], v[11:12]
	v_add_co_u32 v11, s0, s2, v6
	v_add_co_ci_u32_e64 v12, null, s3, 0, s0
	s_clause 0x1
	global_load_b128 v[60:63], v[11:12], off offset:96
	global_load_b128 v[19:22], v[11:12], off offset:112
	v_add_f64 v[68:69], v[46:47], -v[34:35]
	s_mov_b32 s0, 0x4755a5e
	s_mov_b32 s1, 0x3fe2cf23
	;; [unrolled: 1-line block ×3, first 2 shown]
	s_waitcnt vmcnt(1)
	v_mul_f64 v[13:14], v[25:26], v[62:63]
	scratch_store_b128 off, v[60:63], off offset:1260 ; 16-byte Folded Spill
	s_waitcnt vmcnt(0)
	scratch_store_b128 off, v[19:22], off offset:1244 ; 16-byte Folded Spill
	v_fma_f64 v[148:149], v[23:24], v[60:61], -v[13:14]
	v_mul_f64 v[13:14], v[23:24], v[62:63]
	s_delay_alu instid0(VALU_DEP_1) | instskip(SKIP_1) | instid1(VALU_DEP_1)
	v_fma_f64 v[150:151], v[25:26], v[60:61], v[13:14]
	v_mul_f64 v[13:14], v[54:55], v[21:22]
	v_fma_f64 v[152:153], v[52:53], v[19:20], -v[13:14]
	v_mul_f64 v[13:14], v[52:53], v[21:22]
	s_delay_alu instid0(VALU_DEP_1)
	v_fma_f64 v[52:53], v[54:55], v[19:20], v[13:14]
	s_clause 0x1
	global_load_b128 v[23:26], v[11:12], off offset:128
	global_load_b128 v[19:22], v[11:12], off offset:144
	s_waitcnt vmcnt(1) lgkmcnt(0)
	v_mul_f64 v[11:12], v[17:18], v[25:26]
	scratch_store_b128 off, v[23:26], off offset:1276 ; 16-byte Folded Spill
	s_waitcnt vmcnt(0)
	scratch_store_b128 off, v[19:22], off offset:1228 ; 16-byte Folded Spill
	v_fma_f64 v[54:55], v[15:16], v[23:24], -v[11:12]
	v_mul_f64 v[11:12], v[15:16], v[25:26]
	s_delay_alu instid0(VALU_DEP_1) | instskip(SKIP_3) | instid1(VALU_DEP_1)
	v_fma_f64 v[154:155], v[17:18], v[23:24], v[11:12]
	ds_load_b128 v[11:14], v108 offset:24192
	s_waitcnt lgkmcnt(0)
	v_mul_f64 v[15:16], v[13:14], v[21:22]
	v_fma_f64 v[156:157], v[11:12], v[19:20], -v[15:16]
	v_mul_f64 v[11:12], v[11:12], v[21:22]
	s_delay_alu instid0(VALU_DEP_1) | instskip(SKIP_3) | instid1(VALU_DEP_2)
	v_fma_f64 v[158:159], v[13:14], v[19:20], v[11:12]
	v_add_f64 v[11:12], v[44:45], -v[56:57]
	v_add_f64 v[13:14], v[32:33], -v[28:29]
	v_add_f64 v[19:20], v[56:57], v[28:29]
	v_add_f64 v[23:24], v[11:12], v[13:14]
	v_add_f64 v[11:12], v[46:47], -v[58:59]
	v_add_f64 v[13:14], v[34:35], -v[30:31]
	s_delay_alu instid0(VALU_DEP_1)
	v_add_f64 v[25:26], v[11:12], v[13:14]
	ds_load_b128 v[11:14], v108
	ds_load_b128 v[15:18], v108 offset:1008
	s_waitcnt lgkmcnt(1)
	v_fma_f64 v[60:61], v[19:20], -0.5, v[11:12]
	v_add_f64 v[19:20], v[58:59], v[30:31]
	s_delay_alu instid0(VALU_DEP_1) | instskip(NEXT) | instid1(VALU_DEP_3)
	v_fma_f64 v[62:63], v[19:20], -0.5, v[13:14]
	v_fma_f64 v[19:20], v[68:69], s[12:13], v[60:61]
	v_fma_f64 v[60:61], v[68:69], s[14:15], v[60:61]
	s_delay_alu instid0(VALU_DEP_3) | instskip(SKIP_1) | instid1(VALU_DEP_4)
	v_fma_f64 v[21:22], v[76:77], s[14:15], v[62:63]
	v_fma_f64 v[62:63], v[76:77], s[12:13], v[62:63]
	;; [unrolled: 1-line block ×3, first 2 shown]
	s_delay_alu instid0(VALU_DEP_4) | instskip(NEXT) | instid1(VALU_DEP_4)
	v_fma_f64 v[60:61], v[70:71], s[10:11], v[60:61]
	v_fma_f64 v[21:22], v[78:79], s[10:11], v[21:22]
	s_delay_alu instid0(VALU_DEP_4) | instskip(NEXT) | instid1(VALU_DEP_4)
	v_fma_f64 v[62:63], v[78:79], s[0:1], v[62:63]
	v_fma_f64 v[19:20], v[23:24], s[16:17], v[19:20]
	s_delay_alu instid0(VALU_DEP_4) | instskip(SKIP_4) | instid1(VALU_DEP_4)
	v_fma_f64 v[23:24], v[23:24], s[16:17], v[60:61]
	v_add_f64 v[60:61], v[44:45], v[32:33]
	v_fma_f64 v[21:22], v[25:26], s[16:17], v[21:22]
	v_fma_f64 v[25:26], v[25:26], s[16:17], v[62:63]
	v_add_f64 v[62:63], v[46:47], v[34:35]
	v_fma_f64 v[60:61], v[60:61], -0.5, v[11:12]
	v_add_f64 v[11:12], v[11:12], v[44:45]
	v_add_f64 v[44:45], v[56:57], -v[44:45]
	s_delay_alu instid0(VALU_DEP_4) | instskip(SKIP_3) | instid1(VALU_DEP_4)
	v_fma_f64 v[62:63], v[62:63], -0.5, v[13:14]
	v_add_f64 v[13:14], v[13:14], v[46:47]
	v_add_f64 v[46:47], v[58:59], -v[46:47]
	v_add_f64 v[11:12], v[11:12], v[56:57]
	v_fma_f64 v[56:57], v[78:79], s[12:13], v[62:63]
	s_delay_alu instid0(VALU_DEP_4) | instskip(SKIP_1) | instid1(VALU_DEP_4)
	v_add_f64 v[13:14], v[13:14], v[58:59]
	v_fma_f64 v[58:59], v[78:79], s[14:15], v[62:63]
	v_add_f64 v[11:12], v[11:12], v[28:29]
	v_add_f64 v[27:28], v[28:29], -v[32:33]
	s_delay_alu instid0(VALU_DEP_4) | instskip(SKIP_1) | instid1(VALU_DEP_4)
	v_add_f64 v[13:14], v[13:14], v[30:31]
	v_add_f64 v[29:30], v[30:31], -v[34:35]
	v_add_f64 v[11:12], v[11:12], v[32:33]
	v_fma_f64 v[31:32], v[70:71], s[14:15], v[60:61]
	v_add_f64 v[27:28], v[44:45], v[27:28]
	v_fma_f64 v[44:45], v[76:77], s[10:11], v[56:57]
	;; [unrolled: 2-line block ×4, first 2 shown]
	v_fma_f64 v[46:47], v[76:77], s[0:1], v[58:59]
	s_delay_alu instid0(VALU_DEP_4) | instskip(NEXT) | instid1(VALU_DEP_4)
	v_fma_f64 v[33:34], v[68:69], s[10:11], v[33:34]
	v_fma_f64 v[58:59], v[29:30], s[16:17], v[44:45]
	s_delay_alu instid0(VALU_DEP_4) | instskip(NEXT) | instid1(VALU_DEP_4)
	v_fma_f64 v[56:57], v[27:28], s[16:17], v[31:32]
	v_fma_f64 v[62:63], v[29:30], s[16:17], v[46:47]
	v_add_f64 v[29:30], v[80:81], -v[72:73]
	v_add_f64 v[31:32], v[40:41], -v[74:75]
	v_add_f64 v[44:45], v[50:51], -v[40:41]
	v_add_f64 v[46:47], v[38:39], -v[74:75]
	v_fma_f64 v[60:61], v[27:28], s[16:17], v[33:34]
	v_add_f64 v[27:28], v[48:49], -v[36:37]
	v_add_f64 v[33:34], v[38:39], v[74:75]
	s_delay_alu instid0(VALU_DEP_2) | instskip(SKIP_2) | instid1(VALU_DEP_3)
	v_add_f64 v[27:28], v[27:28], v[29:30]
	v_add_f64 v[29:30], v[50:51], -v[38:39]
	s_waitcnt lgkmcnt(0)
	v_fma_f64 v[33:34], v[33:34], -0.5, v[17:18]
	s_delay_alu instid0(VALU_DEP_2) | instskip(SKIP_1) | instid1(VALU_DEP_3)
	v_add_f64 v[29:30], v[29:30], v[31:32]
	v_add_f64 v[31:32], v[36:37], v[72:73]
	v_fma_f64 v[70:71], v[82:83], s[14:15], v[33:34]
	v_fma_f64 v[33:34], v[82:83], s[12:13], v[33:34]
	s_delay_alu instid0(VALU_DEP_3) | instskip(NEXT) | instid1(VALU_DEP_3)
	v_fma_f64 v[31:32], v[31:32], -0.5, v[15:16]
	v_fma_f64 v[70:71], v[84:85], s[10:11], v[70:71]
	s_delay_alu instid0(VALU_DEP_3) | instskip(NEXT) | instid1(VALU_DEP_3)
	v_fma_f64 v[33:34], v[84:85], s[0:1], v[33:34]
	v_fma_f64 v[68:69], v[44:45], s[12:13], v[31:32]
	s_delay_alu instid0(VALU_DEP_3) | instskip(SKIP_1) | instid1(VALU_DEP_4)
	v_fma_f64 v[70:71], v[29:30], s[16:17], v[70:71]
	v_fma_f64 v[31:32], v[44:45], s[14:15], v[31:32]
	;; [unrolled: 1-line block ×3, first 2 shown]
	v_add_f64 v[29:30], v[50:51], v[40:41]
	v_add_f64 v[33:34], v[38:39], -v[50:51]
	v_fma_f64 v[68:69], v[46:47], s[0:1], v[68:69]
	v_fma_f64 v[31:32], v[46:47], s[10:11], v[31:32]
	s_delay_alu instid0(VALU_DEP_4) | instskip(SKIP_1) | instid1(VALU_DEP_4)
	v_fma_f64 v[29:30], v[29:30], -0.5, v[17:18]
	v_add_f64 v[17:18], v[17:18], v[50:51]
	v_fma_f64 v[68:69], v[27:28], s[16:17], v[68:69]
	s_delay_alu instid0(VALU_DEP_4) | instskip(SKIP_3) | instid1(VALU_DEP_3)
	v_fma_f64 v[76:77], v[27:28], s[16:17], v[31:32]
	v_add_f64 v[27:28], v[48:49], v[80:81]
	v_add_f64 v[31:32], v[36:37], -v[48:49]
	v_add_f64 v[17:18], v[17:18], v[38:39]
	v_fma_f64 v[27:28], v[27:28], -0.5, v[15:16]
	v_add_f64 v[15:16], v[15:16], v[48:49]
	s_delay_alu instid0(VALU_DEP_3) | instskip(NEXT) | instid1(VALU_DEP_2)
	v_add_f64 v[17:18], v[17:18], v[74:75]
	v_add_f64 v[15:16], v[15:16], v[36:37]
	v_add_f64 v[35:36], v[72:73], -v[80:81]
	s_delay_alu instid0(VALU_DEP_3)
	v_add_f64 v[17:18], v[17:18], v[40:41]
	v_add_f64 v[37:38], v[74:75], -v[40:41]
	v_fma_f64 v[39:40], v[46:47], s[14:15], v[27:28]
	v_fma_f64 v[27:28], v[46:47], s[12:13], v[27:28]
	;; [unrolled: 1-line block ×4, first 2 shown]
	v_add_f64 v[15:16], v[15:16], v[72:73]
	v_add_f64 v[31:32], v[31:32], v[35:36]
	ds_load_b128 v[72:75], v108 offset:2016
	ds_load_b128 v[88:91], v108 offset:3024
	v_add_f64 v[33:34], v[33:34], v[37:38]
	v_fma_f64 v[35:36], v[44:45], s[0:1], v[39:40]
	v_fma_f64 v[27:28], v[44:45], s[10:11], v[27:28]
	;; [unrolled: 1-line block ×4, first 2 shown]
	v_add_f64 v[44:45], v[96:97], -v[114:115]
	v_add_f64 v[46:47], v[104:105], -v[42:43]
	s_waitcnt lgkmcnt(0)
	s_waitcnt_vscnt null, 0x0
	s_barrier
	buffer_gl0_inv
	ds_store_b128 v0, v[11:14]
	ds_store_b128 v0, v[19:22] offset:144
	ds_store_b128 v0, v[56:59] offset:288
	;; [unrolled: 1-line block ×3, first 2 shown]
	scratch_store_b32 off, v0, off offset:1128 ; 4-byte Folded Spill
	ds_store_b128 v0, v[23:26] offset:576
	v_and_b32_e32 v0, 0xffff, v1
	s_delay_alu instid0(VALU_DEP_1) | instskip(NEXT) | instid1(VALU_DEP_1)
	v_mul_u32_u24_e32 v0, 45, v0
	v_add_lshl_u32 v0, v0, v3, 4
	v_add_f64 v[15:16], v[15:16], v[80:81]
	v_fma_f64 v[80:81], v[31:32], s[16:17], v[35:36]
	v_fma_f64 v[84:85], v[31:32], s[16:17], v[27:28]
	v_add_f64 v[27:28], v[96:97], -v[104:105]
	v_fma_f64 v[86:87], v[33:34], s[16:17], v[29:30]
	v_add_f64 v[29:30], v[114:115], -v[42:43]
	v_add_f64 v[31:32], v[116:117], -v[112:113]
	v_fma_f64 v[82:83], v[33:34], s[16:17], v[37:38]
	v_add_f64 v[33:34], v[106:107], v[112:113]
	v_add_f64 v[35:36], v[98:99], -v[116:117]
	v_add_f64 v[37:38], v[106:107], -v[112:113]
	ds_store_b128 v0, v[15:18]
	ds_store_b128 v0, v[68:71] offset:144
	ds_store_b128 v0, v[80:83] offset:288
	;; [unrolled: 1-line block ×3, first 2 shown]
	v_add_f64 v[27:28], v[27:28], v[29:30]
	v_add_f64 v[29:30], v[98:99], -v[106:107]
	v_fma_f64 v[33:34], v[33:34], -0.5, v[74:75]
	scratch_store_b32 off, v0, off offset:1124 ; 4-byte Folded Spill
	ds_store_b128 v0, v[76:79] offset:576
	v_and_b32_e32 v0, 0xffff, v2
	s_delay_alu instid0(VALU_DEP_1) | instskip(NEXT) | instid1(VALU_DEP_1)
	v_mul_u32_u24_e32 v0, 45, v0
	v_add_lshl_u32 v0, v0, v4, 4
	v_add_f64 v[29:30], v[29:30], v[31:32]
	v_add_f64 v[31:32], v[104:105], v[42:43]
	v_fma_f64 v[48:49], v[44:45], s[14:15], v[33:34]
	v_fma_f64 v[33:34], v[44:45], s[12:13], v[33:34]
	s_delay_alu instid0(VALU_DEP_3) | instskip(NEXT) | instid1(VALU_DEP_3)
	v_fma_f64 v[31:32], v[31:32], -0.5, v[72:73]
	v_fma_f64 v[48:49], v[46:47], s[10:11], v[48:49]
	s_delay_alu instid0(VALU_DEP_3) | instskip(NEXT) | instid1(VALU_DEP_3)
	v_fma_f64 v[33:34], v[46:47], s[0:1], v[33:34]
	v_fma_f64 v[39:40], v[35:36], s[12:13], v[31:32]
	v_fma_f64 v[31:32], v[35:36], s[14:15], v[31:32]
	s_delay_alu instid0(VALU_DEP_3)
	v_fma_f64 v[102:103], v[29:30], s[16:17], v[33:34]
	v_add_f64 v[33:34], v[74:75], v[98:99]
	v_fma_f64 v[94:95], v[29:30], s[16:17], v[48:49]
	v_add_f64 v[29:30], v[98:99], v[116:117]
	v_add_f64 v[48:49], v[106:107], -v[98:99]
	v_fma_f64 v[39:40], v[37:38], s[0:1], v[39:40]
	v_fma_f64 v[31:32], v[37:38], s[10:11], v[31:32]
	v_add_f64 v[33:34], v[33:34], v[106:107]
	v_fma_f64 v[29:30], v[29:30], -0.5, v[74:75]
	s_delay_alu instid0(VALU_DEP_4) | instskip(NEXT) | instid1(VALU_DEP_4)
	v_fma_f64 v[92:93], v[27:28], s[16:17], v[39:40]
	v_fma_f64 v[100:101], v[27:28], s[16:17], v[31:32]
	v_add_f64 v[31:32], v[72:73], v[96:97]
	v_add_f64 v[27:28], v[96:97], v[114:115]
	;; [unrolled: 1-line block ×3, first 2 shown]
	v_add_f64 v[39:40], v[104:105], -v[96:97]
	s_delay_alu instid0(VALU_DEP_4) | instskip(NEXT) | instid1(VALU_DEP_4)
	v_add_f64 v[31:32], v[31:32], v[104:105]
	v_fma_f64 v[27:28], v[27:28], -0.5, v[72:73]
	s_delay_alu instid0(VALU_DEP_4) | instskip(NEXT) | instid1(VALU_DEP_3)
	v_add_f64 v[106:107], v[33:34], v[116:117]
	v_add_f64 v[31:32], v[31:32], v[42:43]
	v_add_f64 v[41:42], v[42:43], -v[114:115]
	s_delay_alu instid0(VALU_DEP_4)
	v_fma_f64 v[33:34], v[37:38], s[14:15], v[27:28]
	v_fma_f64 v[27:28], v[37:38], s[12:13], v[27:28]
	;; [unrolled: 1-line block ×4, first 2 shown]
	v_add_f64 v[104:105], v[31:32], v[114:115]
	v_add_f64 v[31:32], v[112:113], -v[116:117]
	v_add_f64 v[39:40], v[39:40], v[41:42]
	v_fma_f64 v[27:28], v[35:36], s[10:11], v[27:28]
	v_fma_f64 v[33:34], v[35:36], s[0:1], v[33:34]
	;; [unrolled: 1-line block ×4, first 2 shown]
	v_add_f64 v[41:42], v[128:129], -v[144:145]
	v_add_f64 v[37:38], v[138:139], -v[142:143]
	;; [unrolled: 1-line block ×3, first 2 shown]
	v_add_f64 v[31:32], v[48:49], v[31:32]
	v_add_f64 v[47:48], v[140:141], -v[144:145]
	v_fma_f64 v[120:121], v[39:40], s[16:17], v[27:28]
	v_add_f64 v[27:28], v[128:129], -v[136:137]
	v_fma_f64 v[116:117], v[39:40], s[16:17], v[33:34]
	v_add_f64 v[33:34], v[138:139], v[142:143]
	v_fma_f64 v[122:123], v[31:32], s[16:17], v[29:30]
	v_add_f64 v[29:30], v[144:145], -v[140:141]
	v_fma_f64 v[118:119], v[31:32], s[16:17], v[35:36]
	v_add_f64 v[31:32], v[146:147], -v[142:143]
	v_add_f64 v[35:36], v[130:131], -v[146:147]
	v_fma_f64 v[33:34], v[33:34], -0.5, v[90:91]
	ds_store_b128 v0, v[104:107]
	ds_store_b128 v0, v[92:95] offset:144
	ds_store_b128 v0, v[116:119] offset:288
	;; [unrolled: 1-line block ×3, first 2 shown]
	v_add_f64 v[27:28], v[27:28], v[29:30]
	v_add_f64 v[29:30], v[130:131], -v[138:139]
	scratch_store_b32 off, v0, off offset:1120 ; 4-byte Folded Spill
	ds_store_b128 v0, v[100:103] offset:576
	v_fma_f64 v[45:46], v[41:42], s[14:15], v[33:34]
	v_fma_f64 v[33:34], v[41:42], s[12:13], v[33:34]
	v_and_b32_e32 v0, 0xffff, v160
	s_delay_alu instid0(VALU_DEP_1) | instskip(NEXT) | instid1(VALU_DEP_1)
	v_mul_u32_u24_e32 v0, 45, v0
	v_add_lshl_u32 v0, v0, v161, 4
	v_add_f64 v[29:30], v[29:30], v[31:32]
	v_add_f64 v[31:32], v[136:137], v[140:141]
	v_fma_f64 v[45:46], v[43:44], s[10:11], v[45:46]
	v_fma_f64 v[33:34], v[43:44], s[0:1], v[33:34]
	s_delay_alu instid0(VALU_DEP_3) | instskip(NEXT) | instid1(VALU_DEP_3)
	v_fma_f64 v[31:32], v[31:32], -0.5, v[88:89]
	v_fma_f64 v[126:127], v[29:30], s[16:17], v[45:46]
	s_delay_alu instid0(VALU_DEP_3)
	v_fma_f64 v[134:135], v[29:30], s[16:17], v[33:34]
	v_add_f64 v[33:34], v[90:91], v[130:131]
	v_add_f64 v[29:30], v[130:131], v[146:147]
	v_add_f64 v[45:46], v[138:139], -v[130:131]
	v_fma_f64 v[39:40], v[35:36], s[12:13], v[31:32]
	v_fma_f64 v[31:32], v[35:36], s[14:15], v[31:32]
	v_add_f64 v[33:34], v[33:34], v[138:139]
	v_fma_f64 v[29:30], v[29:30], -0.5, v[90:91]
	s_delay_alu instid0(VALU_DEP_4) | instskip(NEXT) | instid1(VALU_DEP_4)
	v_fma_f64 v[39:40], v[37:38], s[0:1], v[39:40]
	v_fma_f64 v[31:32], v[37:38], s[10:11], v[31:32]
	s_delay_alu instid0(VALU_DEP_4) | instskip(NEXT) | instid1(VALU_DEP_3)
	v_add_f64 v[33:34], v[33:34], v[142:143]
	v_fma_f64 v[124:125], v[27:28], s[16:17], v[39:40]
	s_delay_alu instid0(VALU_DEP_3) | instskip(SKIP_4) | instid1(VALU_DEP_4)
	v_fma_f64 v[132:133], v[27:28], s[16:17], v[31:32]
	v_add_f64 v[31:32], v[88:89], v[128:129]
	v_add_f64 v[27:28], v[128:129], v[144:145]
	v_add_f64 v[39:40], v[136:137], -v[128:129]
	v_add_f64 v[90:91], v[33:34], v[146:147]
	v_add_f64 v[31:32], v[31:32], v[136:137]
	s_delay_alu instid0(VALU_DEP_4) | instskip(NEXT) | instid1(VALU_DEP_4)
	v_fma_f64 v[27:28], v[27:28], -0.5, v[88:89]
	v_add_f64 v[39:40], v[39:40], v[47:48]
	s_delay_alu instid0(VALU_DEP_3) | instskip(NEXT) | instid1(VALU_DEP_3)
	v_add_f64 v[31:32], v[31:32], v[140:141]
	v_fma_f64 v[33:34], v[37:38], s[14:15], v[27:28]
	v_fma_f64 v[27:28], v[37:38], s[12:13], v[27:28]
	;; [unrolled: 1-line block ×4, first 2 shown]
	v_add_f64 v[43:44], v[148:149], -v[156:157]
	v_add_f64 v[88:89], v[31:32], v[144:145]
	v_add_f64 v[31:32], v[142:143], -v[146:147]
	v_fma_f64 v[27:28], v[35:36], s[10:11], v[27:28]
	v_fma_f64 v[33:34], v[35:36], s[0:1], v[33:34]
	;; [unrolled: 1-line block ×4, first 2 shown]
	v_add_f64 v[41:42], v[152:153], -v[54:55]
	v_add_f64 v[37:38], v[150:151], -v[158:159]
	v_add_f64 v[31:32], v[45:46], v[31:32]
	v_fma_f64 v[140:141], v[39:40], s[16:17], v[27:28]
	v_add_f64 v[27:28], v[152:153], -v[148:149]
	v_fma_f64 v[136:137], v[39:40], s[16:17], v[33:34]
	v_add_f64 v[33:34], v[150:151], v[158:159]
	v_fma_f64 v[142:143], v[31:32], s[16:17], v[29:30]
	v_add_f64 v[29:30], v[54:55], -v[156:157]
	v_fma_f64 v[138:139], v[31:32], s[16:17], v[35:36]
	v_add_f64 v[31:32], v[154:155], -v[158:159]
	v_fma_f64 v[33:34], v[33:34], -0.5, v[9:10]
	v_add_f64 v[35:36], v[52:53], -v[154:155]
	ds_store_b128 v0, v[88:91]
	ds_store_b128 v0, v[124:127] offset:144
	ds_store_b128 v0, v[136:139] offset:288
	;; [unrolled: 1-line block ×3, first 2 shown]
	v_add_f64 v[27:28], v[27:28], v[29:30]
	v_add_f64 v[29:30], v[52:53], -v[150:151]
	s_clause 0x1
	scratch_store_b32 off, v0, off offset:1116
	scratch_store_b32 off, v164, off
	v_fma_f64 v[45:46], v[41:42], s[12:13], v[33:34]
	v_fma_f64 v[33:34], v[41:42], s[14:15], v[33:34]
	ds_store_b128 v0, v[132:135] offset:576
	v_mad_u16 v0, v162, 45, v163
	s_delay_alu instid0(VALU_DEP_1) | instskip(NEXT) | instid1(VALU_DEP_1)
	v_and_b32_e32 v0, 0xffff, v0
	v_lshlrev_b32_e32 v0, 4, v0
	v_add_f64 v[29:30], v[29:30], v[31:32]
	v_add_f64 v[31:32], v[148:149], v[156:157]
	v_fma_f64 v[45:46], v[43:44], s[10:11], v[45:46]
	v_fma_f64 v[33:34], v[43:44], s[0:1], v[33:34]
	s_delay_alu instid0(VALU_DEP_3) | instskip(NEXT) | instid1(VALU_DEP_3)
	v_fma_f64 v[31:32], v[31:32], -0.5, v[7:8]
	v_fma_f64 v[74:75], v[29:30], s[16:17], v[45:46]
	s_delay_alu instid0(VALU_DEP_3)
	v_fma_f64 v[98:99], v[29:30], s[16:17], v[33:34]
	v_add_f64 v[29:30], v[52:53], v[154:155]
	v_add_f64 v[33:34], v[150:151], -v[52:53]
	v_add_f64 v[45:46], v[158:159], -v[154:155]
	v_fma_f64 v[39:40], v[35:36], s[14:15], v[31:32]
	v_fma_f64 v[31:32], v[35:36], s[12:13], v[31:32]
	v_fma_f64 v[29:30], v[29:30], -0.5, v[9:10]
	s_delay_alu instid0(VALU_DEP_4) | instskip(NEXT) | instid1(VALU_DEP_4)
	v_add_f64 v[33:34], v[33:34], v[45:46]
	v_fma_f64 v[39:40], v[37:38], s[0:1], v[39:40]
	s_delay_alu instid0(VALU_DEP_4) | instskip(NEXT) | instid1(VALU_DEP_2)
	v_fma_f64 v[31:32], v[37:38], s[10:11], v[31:32]
	v_fma_f64 v[72:73], v[27:28], s[16:17], v[39:40]
	s_delay_alu instid0(VALU_DEP_2) | instskip(SKIP_3) | instid1(VALU_DEP_3)
	v_fma_f64 v[96:97], v[27:28], s[16:17], v[31:32]
	v_add_f64 v[27:28], v[152:153], v[54:55]
	v_add_f64 v[31:32], v[148:149], -v[152:153]
	v_add_f64 v[39:40], v[156:157], -v[54:55]
	v_fma_f64 v[27:28], v[27:28], -0.5, v[7:8]
	v_add_f64 v[6:7], v[7:8], v[148:149]
	v_add_f64 v[8:9], v[9:10], v[150:151]
	s_delay_alu instid0(VALU_DEP_4) | instskip(NEXT) | instid1(VALU_DEP_4)
	v_add_f64 v[31:32], v[31:32], v[39:40]
	v_fma_f64 v[47:48], v[37:38], s[12:13], v[27:28]
	s_delay_alu instid0(VALU_DEP_4) | instskip(NEXT) | instid1(VALU_DEP_4)
	v_add_f64 v[6:7], v[6:7], v[152:153]
	v_add_f64 v[8:9], v[8:9], v[52:53]
	v_fma_f64 v[27:28], v[37:38], s[14:15], v[27:28]
	v_fma_f64 v[37:38], v[43:44], s[14:15], v[29:30]
	;; [unrolled: 1-line block ×4, first 2 shown]
	v_add_f64 v[6:7], v[6:7], v[54:55]
	v_add_f64 v[8:9], v[8:9], v[154:155]
	v_fma_f64 v[27:28], v[35:36], s[10:11], v[27:28]
	v_fma_f64 v[35:36], v[41:42], s[10:11], v[37:38]
	;; [unrolled: 1-line block ×3, first 2 shown]
	v_cmp_gt_u16_e64 s0, 36, v164
	v_fma_f64 v[112:113], v[31:32], s[16:17], v[39:40]
	v_add_f64 v[6:7], v[6:7], v[156:157]
	v_add_f64 v[8:9], v[8:9], v[158:159]
	v_fma_f64 v[128:129], v[31:32], s[16:17], v[27:28]
	v_fma_f64 v[114:115], v[33:34], s[16:17], v[35:36]
	;; [unrolled: 1-line block ×3, first 2 shown]
	ds_store_b128 v0, v[6:9]
	ds_store_b128 v0, v[112:115] offset:144
	ds_store_b128 v0, v[72:75] offset:288
	;; [unrolled: 1-line block ×3, first 2 shown]
	scratch_store_b32 off, v0, off offset:1112 ; 4-byte Folded Spill
	ds_store_b128 v0, v[128:131] offset:576
	s_waitcnt lgkmcnt(0)
	s_waitcnt_vscnt null, 0x0
	s_barrier
	buffer_gl0_inv
	ds_load_b128 v[124:127], v108
	ds_load_b128 v[120:123], v108 offset:1008
	ds_load_b128 v[76:79], v108 offset:7200
	;; [unrolled: 1-line block ×20, first 2 shown]
	s_and_saveexec_b32 s1, s0
	s_cbranch_execz .LBB0_13
; %bb.12:
	ds_load_b128 v[112:115], v108 offset:3024
	ds_load_b128 v[72:75], v108 offset:6624
	;; [unrolled: 1-line block ×7, first 2 shown]
.LBB0_13:
	s_or_b32 exec_lo, exec_lo, s1
	scratch_load_b32 v59, off, off          ; 4-byte Folded Reload
	s_mov_b32 s14, 0x36b3c0b5
	s_mov_b32 s20, 0xe976ee23
	;; [unrolled: 1-line block ×20, first 2 shown]
	s_waitcnt vmcnt(0)
	v_subrev_nc_u32_e32 v0, 45, v59
	v_cmp_gt_u16_e64 s1, 45, v59
	s_delay_alu instid0(VALU_DEP_1) | instskip(NEXT) | instid1(VALU_DEP_1)
	v_cndmask_b32_e64 v22, v0, v59, s1
	v_mul_i32_i24_e32 v0, 0x60, v22
	v_mul_hi_i32_i24_e32 v1, 0x60, v22
	s_delay_alu instid0(VALU_DEP_2) | instskip(NEXT) | instid1(VALU_DEP_1)
	v_add_co_u32 v0, s1, s2, v0
	v_add_co_ci_u32_e64 v1, s1, s3, v1, s1
	v_cmp_lt_u16_e64 s1, 44, v59
	s_clause 0x1
	global_load_b128 v[4:7], v[0:1], off offset:672
	global_load_b128 v[8:11], v[0:1], off offset:688
	s_waitcnt vmcnt(1) lgkmcnt(12)
	v_mul_f64 v[2:3], v[82:83], v[6:7]
	scratch_store_b128 off, v[4:7], off offset:1292 ; 16-byte Folded Spill
	s_waitcnt vmcnt(0)
	scratch_store_b128 off, v[8:11], off offset:1340 ; 16-byte Folded Spill
	v_fma_f64 v[178:179], v[80:81], v[4:5], -v[2:3]
	v_mul_f64 v[2:3], v[80:81], v[6:7]
	s_delay_alu instid0(VALU_DEP_1) | instskip(SKIP_1) | instid1(VALU_DEP_1)
	v_fma_f64 v[176:177], v[82:83], v[4:5], v[2:3]
	v_mul_f64 v[2:3], v[78:79], v[10:11]
	v_fma_f64 v[182:183], v[76:77], v[8:9], -v[2:3]
	v_mul_f64 v[2:3], v[76:77], v[10:11]
	s_delay_alu instid0(VALU_DEP_1)
	v_fma_f64 v[180:181], v[78:79], v[8:9], v[2:3]
	s_clause 0x1
	global_load_b128 v[76:79], v[0:1], off offset:736
	global_load_b128 v[80:83], v[0:1], off offset:752
	s_waitcnt vmcnt(1) lgkmcnt(4)
	v_mul_f64 v[2:3], v[86:87], v[78:79]
	s_delay_alu instid0(VALU_DEP_1) | instskip(SKIP_1) | instid1(VALU_DEP_1)
	v_fma_f64 v[192:193], v[84:85], v[76:77], -v[2:3]
	v_mul_f64 v[2:3], v[84:85], v[78:79]
	v_fma_f64 v[188:189], v[86:87], v[76:77], v[2:3]
	s_waitcnt vmcnt(0)
	v_mul_f64 v[2:3], v[62:63], v[82:83]
	s_delay_alu instid0(VALU_DEP_1) | instskip(SKIP_1) | instid1(VALU_DEP_1)
	v_fma_f64 v[198:199], v[60:61], v[80:81], -v[2:3]
	v_mul_f64 v[2:3], v[60:61], v[82:83]
	v_fma_f64 v[196:197], v[62:63], v[80:81], v[2:3]
	s_clause 0x1
	global_load_b128 v[2:5], v[0:1], off offset:704
	global_load_b128 v[84:87], v[0:1], off offset:720
	s_waitcnt vmcnt(1)
	v_mul_f64 v[0:1], v[94:95], v[4:5]
	scratch_store_b128 off, v[2:5], off offset:1308 ; 16-byte Folded Spill
	v_fma_f64 v[222:223], v[92:93], v[2:3], -v[0:1]
	v_mul_f64 v[0:1], v[92:93], v[4:5]
	s_delay_alu instid0(VALU_DEP_1) | instskip(SKIP_2) | instid1(VALU_DEP_1)
	v_fma_f64 v[220:221], v[94:95], v[2:3], v[0:1]
	s_waitcnt vmcnt(0)
	v_mul_f64 v[0:1], v[90:91], v[86:87]
	v_fma_f64 v[226:227], v[88:89], v[84:85], -v[0:1]
	v_mul_f64 v[0:1], v[88:89], v[86:87]
	s_delay_alu instid0(VALU_DEP_1) | instskip(SKIP_1) | instid1(VALU_DEP_1)
	v_fma_f64 v[224:225], v[90:91], v[84:85], v[0:1]
	v_mul_lo_u16 v0, 0x6d, v185
	v_lshrrev_b16 v0, 8, v0
	s_delay_alu instid0(VALU_DEP_1) | instskip(NEXT) | instid1(VALU_DEP_1)
	v_sub_nc_u16 v1, v109, v0
	v_lshrrev_b16 v1, 1, v1
	s_delay_alu instid0(VALU_DEP_1) | instskip(NEXT) | instid1(VALU_DEP_1)
	v_and_b32_e32 v1, 0x7f, v1
	v_add_nc_u16 v0, v1, v0
	s_delay_alu instid0(VALU_DEP_1) | instskip(NEXT) | instid1(VALU_DEP_1)
	v_lshrrev_b16 v23, 5, v0
	v_mul_lo_u16 v0, v23, 45
	s_delay_alu instid0(VALU_DEP_1) | instskip(NEXT) | instid1(VALU_DEP_1)
	v_sub_nc_u16 v0, v109, v0
	v_and_b32_e32 v24, 0xff, v0
	s_delay_alu instid0(VALU_DEP_1)
	v_mad_u64_u32 v[16:17], null, 0x60, v24, s[2:3]
	s_clause 0x1
	global_load_b128 v[88:91], v[16:17], off offset:672
	global_load_b128 v[92:95], v[16:17], off offset:688
	s_waitcnt vmcnt(1)
	v_mul_f64 v[0:1], v[146:147], v[90:91]
	s_delay_alu instid0(VALU_DEP_1) | instskip(SKIP_1) | instid1(VALU_DEP_1)
	v_fma_f64 v[206:207], v[144:145], v[88:89], -v[0:1]
	v_mul_f64 v[0:1], v[144:145], v[90:91]
	v_fma_f64 v[204:205], v[146:147], v[88:89], v[0:1]
	s_waitcnt vmcnt(0)
	v_mul_f64 v[0:1], v[142:143], v[94:95]
	s_delay_alu instid0(VALU_DEP_1) | instskip(SKIP_1) | instid1(VALU_DEP_1)
	v_fma_f64 v[210:211], v[140:141], v[92:93], -v[0:1]
	v_mul_f64 v[0:1], v[140:141], v[94:95]
	v_fma_f64 v[208:209], v[142:143], v[92:93], v[0:1]
	s_clause 0x1
	global_load_b128 v[140:143], v[16:17], off offset:736
	global_load_b128 v[144:147], v[16:17], off offset:752
	s_waitcnt vmcnt(1) lgkmcnt(2)
	v_mul_f64 v[0:1], v[162:163], v[142:143]
	s_delay_alu instid0(VALU_DEP_1) | instskip(SKIP_1) | instid1(VALU_DEP_2)
	v_fma_f64 v[214:215], v[160:161], v[140:141], -v[0:1]
	v_mul_f64 v[0:1], v[160:161], v[142:143]
	v_add_f64 v[39:40], v[210:211], v[214:215]
	s_delay_alu instid0(VALU_DEP_2) | instskip(SKIP_2) | instid1(VALU_DEP_2)
	v_fma_f64 v[212:213], v[162:163], v[140:141], v[0:1]
	s_waitcnt vmcnt(0)
	v_mul_f64 v[0:1], v[158:159], v[146:147]
	v_add_f64 v[47:48], v[208:209], v[212:213]
	s_delay_alu instid0(VALU_DEP_2) | instskip(SKIP_1) | instid1(VALU_DEP_2)
	v_fma_f64 v[218:219], v[156:157], v[144:145], -v[0:1]
	v_mul_f64 v[0:1], v[156:157], v[146:147]
	v_add_f64 v[37:38], v[206:207], v[218:219]
	s_delay_alu instid0(VALU_DEP_2) | instskip(SKIP_1) | instid1(VALU_DEP_1)
	v_fma_f64 v[216:217], v[158:159], v[144:145], v[0:1]
	v_mul_lo_u16 v0, 0x6d, v184
	v_lshrrev_b16 v0, 8, v0
	s_delay_alu instid0(VALU_DEP_1) | instskip(NEXT) | instid1(VALU_DEP_1)
	v_sub_nc_u16 v1, v110, v0
	v_lshrrev_b16 v1, 1, v1
	s_delay_alu instid0(VALU_DEP_1) | instskip(NEXT) | instid1(VALU_DEP_1)
	v_and_b32_e32 v1, 0x7f, v1
	v_add_nc_u16 v0, v1, v0
	s_delay_alu instid0(VALU_DEP_1) | instskip(NEXT) | instid1(VALU_DEP_1)
	v_lshrrev_b16 v25, 5, v0
	v_mul_lo_u16 v0, v25, 45
	v_add_f64 v[43:44], v[39:40], v[37:38]
	v_add_f64 v[45:46], v[204:205], v[216:217]
	s_delay_alu instid0(VALU_DEP_3) | instskip(NEXT) | instid1(VALU_DEP_1)
	v_sub_nc_u16 v0, v110, v0
	v_and_b32_e32 v26, 0xff, v0
	s_delay_alu instid0(VALU_DEP_1)
	v_mad_u64_u32 v[18:19], null, 0x60, v26, s[2:3]
	s_clause 0x1
	global_load_b128 v[156:159], v[18:19], off offset:672
	global_load_b128 v[160:163], v[18:19], off offset:688
	v_add_f64 v[51:52], v[47:48], v[45:46]
	s_waitcnt vmcnt(1)
	v_mul_f64 v[0:1], v[106:107], v[158:159]
	s_delay_alu instid0(VALU_DEP_1) | instskip(SKIP_1) | instid1(VALU_DEP_1)
	v_fma_f64 v[186:187], v[104:105], v[156:157], -v[0:1]
	v_mul_f64 v[0:1], v[104:105], v[158:159]
	v_fma_f64 v[184:185], v[106:107], v[156:157], v[0:1]
	s_waitcnt vmcnt(0)
	v_mul_f64 v[0:1], v[102:103], v[162:163]
	s_delay_alu instid0(VALU_DEP_1) | instskip(SKIP_1) | instid1(VALU_DEP_1)
	v_fma_f64 v[194:195], v[100:101], v[160:161], -v[0:1]
	v_mul_f64 v[0:1], v[100:101], v[162:163]
	v_fma_f64 v[190:191], v[102:103], v[160:161], v[0:1]
	s_clause 0x1
	global_load_b128 v[100:103], v[18:19], off offset:736
	global_load_b128 v[104:107], v[18:19], off offset:752
	s_waitcnt vmcnt(1) lgkmcnt(1)
	v_mul_f64 v[0:1], v[170:171], v[102:103]
	s_delay_alu instid0(VALU_DEP_1) | instskip(SKIP_1) | instid1(VALU_DEP_2)
	v_fma_f64 v[200:201], v[168:169], v[100:101], -v[0:1]
	v_mul_f64 v[0:1], v[168:169], v[102:103]
	v_add_f64 v[53:54], v[194:195], v[200:201]
	s_delay_alu instid0(VALU_DEP_2) | instskip(SKIP_2) | instid1(VALU_DEP_2)
	v_fma_f64 v[168:169], v[170:171], v[100:101], v[0:1]
	s_waitcnt vmcnt(0) lgkmcnt(0)
	v_mul_f64 v[0:1], v[154:155], v[106:107]
	v_add_f64 v[55:56], v[190:191], v[168:169]
	s_delay_alu instid0(VALU_DEP_2) | instskip(SKIP_1) | instid1(VALU_DEP_2)
	v_fma_f64 v[202:203], v[152:153], v[104:105], -v[0:1]
	v_mul_f64 v[0:1], v[152:153], v[106:107]
	v_add_f64 v[244:245], v[186:187], v[202:203]
	s_delay_alu instid0(VALU_DEP_2) | instskip(SKIP_1) | instid1(VALU_DEP_1)
	v_fma_f64 v[170:171], v[154:155], v[104:105], v[0:1]
	v_mul_lo_u16 v0, 0x6d, v232
	v_lshrrev_b16 v0, 8, v0
	s_delay_alu instid0(VALU_DEP_1) | instskip(NEXT) | instid1(VALU_DEP_1)
	v_sub_nc_u16 v1, v233, v0
	v_lshrrev_b16 v1, 1, v1
	s_delay_alu instid0(VALU_DEP_1) | instskip(NEXT) | instid1(VALU_DEP_1)
	v_and_b32_e32 v1, 0x7f, v1
	v_add_nc_u16 v0, v1, v0
	s_delay_alu instid0(VALU_DEP_1) | instskip(NEXT) | instid1(VALU_DEP_1)
	v_lshrrev_b16 v0, 5, v0
	v_mul_lo_u16 v0, v0, 45
	v_add_f64 v[60:61], v[53:54], v[244:245]
	v_add_f64 v[248:249], v[184:185], v[170:171]
	s_delay_alu instid0(VALU_DEP_3) | instskip(NEXT) | instid1(VALU_DEP_1)
	v_sub_nc_u16 v0, v233, v0
	v_and_b32_e32 v0, 0xff, v0
	s_clause 0x1
	scratch_store_b32 off, v233, off offset:1392
	scratch_store_b32 off, v0, off offset:640
	v_mad_u64_u32 v[20:21], null, 0x60, v0, s[2:3]
	s_clause 0x1
	global_load_b128 v[4:7], v[20:21], off offset:672
	global_load_b128 v[8:11], v[20:21], off offset:688
	v_add_f64 v[57:58], v[55:56], v[248:249]
	s_waitcnt vmcnt(1)
	scratch_store_b128 off, v[4:7], off offset:1400 ; 16-byte Folded Spill
	s_waitcnt vmcnt(0)
	scratch_store_b128 off, v[8:11], off offset:1416 ; 16-byte Folded Spill
	s_clause 0x1
	global_load_b128 v[12:15], v[20:21], off offset:736
	global_load_b128 v[27:30], v[20:21], off offset:752
	v_mul_f64 v[0:1], v[74:75], v[6:7]
	v_mul_f64 v[2:3], v[72:73], v[6:7]
	s_delay_alu instid0(VALU_DEP_2) | instskip(NEXT) | instid1(VALU_DEP_2)
	v_fma_f64 v[0:1], v[72:73], v[4:5], -v[0:1]
	v_fma_f64 v[2:3], v[74:75], v[4:5], v[2:3]
	v_mul_f64 v[4:5], v[98:99], v[10:11]
	s_delay_alu instid0(VALU_DEP_1) | instskip(SKIP_1) | instid1(VALU_DEP_1)
	v_fma_f64 v[6:7], v[96:97], v[8:9], -v[4:5]
	v_mul_f64 v[4:5], v[96:97], v[10:11]
	v_fma_f64 v[4:5], v[98:99], v[8:9], v[4:5]
	s_waitcnt vmcnt(1)
	scratch_store_b128 off, v[12:15], off offset:1432 ; 16-byte Folded Spill
	s_waitcnt vmcnt(0)
	scratch_store_b128 off, v[27:30], off offset:1448 ; 16-byte Folded Spill
	s_clause 0x1
	global_load_b128 v[96:99], v[16:17], off offset:704
	global_load_b128 v[152:155], v[16:17], off offset:720
	v_mul_f64 v[8:9], v[66:67], v[14:15]
	s_delay_alu instid0(VALU_DEP_1) | instskip(SKIP_2) | instid1(VALU_DEP_3)
	v_fma_f64 v[10:11], v[64:65], v[12:13], -v[8:9]
	v_mul_f64 v[8:9], v[64:65], v[14:15]
	v_mul_f64 v[14:15], v[172:173], v[29:30]
	v_add_f64 v[234:235], v[6:7], v[10:11]
	s_delay_alu instid0(VALU_DEP_3) | instskip(SKIP_1) | instid1(VALU_DEP_4)
	v_fma_f64 v[8:9], v[66:67], v[12:13], v[8:9]
	v_mul_f64 v[12:13], v[174:175], v[29:30]
	v_fma_f64 v[14:15], v[174:175], v[27:28], v[14:15]
	v_add_f64 v[6:7], v[6:7], -v[10:11]
	s_delay_alu instid0(VALU_DEP_4) | instskip(NEXT) | instid1(VALU_DEP_4)
	v_add_f64 v[240:241], v[4:5], v[8:9]
	v_fma_f64 v[12:13], v[172:173], v[27:28], -v[12:13]
	s_clause 0x1
	global_load_b128 v[31:34], v[18:19], off offset:704
	global_load_b128 v[27:30], v[18:19], off offset:720
	v_add_f64 v[238:239], v[2:3], v[14:15]
	v_add_f64 v[4:5], v[4:5], -v[8:9]
	v_add_f64 v[2:3], v[2:3], -v[14:15]
	v_add_f64 v[232:233], v[0:1], v[12:13]
	v_add_f64 v[0:1], v[0:1], -v[12:13]
	s_delay_alu instid0(VALU_DEP_2) | instskip(SKIP_2) | instid1(VALU_DEP_1)
	v_add_f64 v[12:13], v[234:235], -v[232:233]
	s_waitcnt vmcnt(3)
	v_mul_f64 v[16:17], v[166:167], v[98:99]
	v_fma_f64 v[172:173], v[164:165], v[96:97], -v[16:17]
	v_mul_f64 v[16:17], v[164:165], v[98:99]
	s_delay_alu instid0(VALU_DEP_1) | instskip(SKIP_2) | instid1(VALU_DEP_1)
	v_fma_f64 v[164:165], v[166:167], v[96:97], v[16:17]
	s_waitcnt vmcnt(2)
	v_mul_f64 v[16:17], v[138:139], v[154:155]
	v_fma_f64 v[166:167], v[136:137], v[152:153], -v[16:17]
	v_mul_f64 v[16:17], v[136:137], v[154:155]
	s_waitcnt vmcnt(1)
	scratch_store_b128 off, v[31:34], off offset:1356 ; 16-byte Folded Spill
	s_waitcnt vmcnt(0)
	scratch_store_b128 off, v[27:30], off offset:1324 ; 16-byte Folded Spill
	v_add_f64 v[41:42], v[172:173], v[166:167]
	v_fma_f64 v[174:175], v[138:139], v[152:153], v[16:17]
	v_mul_f64 v[16:17], v[150:151], v[33:34]
	s_delay_alu instid0(VALU_DEP_3) | instskip(NEXT) | instid1(VALU_DEP_3)
	v_add_f64 v[43:44], v[41:42], v[43:44]
	v_add_f64 v[49:50], v[164:165], v[174:175]
	s_delay_alu instid0(VALU_DEP_3) | instskip(SKIP_1) | instid1(VALU_DEP_4)
	v_fma_f64 v[138:139], v[148:149], v[31:32], -v[16:17]
	v_mul_f64 v[16:17], v[148:149], v[33:34]
	v_add_f64 v[120:121], v[120:121], v[43:44]
	s_delay_alu instid0(VALU_DEP_4) | instskip(NEXT) | instid1(VALU_DEP_3)
	v_add_f64 v[51:52], v[49:50], v[51:52]
	v_fma_f64 v[136:137], v[150:151], v[31:32], v[16:17]
	v_mul_f64 v[16:17], v[134:135], v[29:30]
	v_add_f64 v[150:151], v[182:183], v[192:193]
	v_fma_f64 v[43:44], v[43:44], s[10:11], v[120:121]
	v_add_f64 v[122:123], v[122:123], v[51:52]
	s_delay_alu instid0(VALU_DEP_4) | instskip(SKIP_1) | instid1(VALU_DEP_3)
	v_fma_f64 v[148:149], v[132:133], v[27:28], -v[16:17]
	v_mul_f64 v[16:17], v[132:133], v[29:30]
	v_fma_f64 v[51:52], v[51:52], s[10:11], v[122:123]
	s_delay_alu instid0(VALU_DEP_3) | instskip(NEXT) | instid1(VALU_DEP_3)
	v_add_f64 v[246:247], v[138:139], v[148:149]
	v_fma_f64 v[132:133], v[134:135], v[27:28], v[16:17]
	s_clause 0x1
	global_load_b128 v[27:30], v[20:21], off offset:704
	global_load_b128 v[31:34], v[20:21], off offset:720
	v_add_f64 v[134:135], v[178:179], v[198:199]
	v_add_f64 v[252:253], v[246:247], v[60:61]
	;; [unrolled: 1-line block ×3, first 2 shown]
	s_delay_alu instid0(VALU_DEP_2) | instskip(NEXT) | instid1(VALU_DEP_2)
	v_add_f64 v[116:117], v[116:117], v[252:253]
	v_add_f64 v[254:255], v[250:251], v[57:58]
	;; [unrolled: 1-line block ×3, first 2 shown]
	s_delay_alu instid0(VALU_DEP_2)
	v_add_f64 v[118:119], v[118:119], v[254:255]
	s_waitcnt vmcnt(1)
	v_mul_f64 v[16:17], v[130:131], v[29:30]
	s_waitcnt vmcnt(0)
	v_mul_f64 v[20:21], v[230:231], v[33:34]
	s_clause 0x1
	scratch_store_b128 off, v[27:30], off offset:1464
	scratch_store_b128 off, v[31:34], off offset:1480
	s_waitcnt_vscnt null, 0x0
	s_barrier
	buffer_gl0_inv
	v_fma_f64 v[18:19], v[128:129], v[27:28], -v[16:17]
	v_mul_f64 v[16:17], v[128:129], v[29:30]
	v_add_f64 v[29:30], v[176:177], v[196:197]
	s_delay_alu instid0(VALU_DEP_2) | instskip(SKIP_4) | instid1(VALU_DEP_4)
	v_fma_f64 v[16:17], v[130:131], v[27:28], v[16:17]
	v_fma_f64 v[130:131], v[228:229], v[31:32], -v[20:21]
	v_mul_f64 v[20:21], v[228:229], v[33:34]
	v_add_f64 v[33:34], v[220:221], v[224:225]
	v_add_f64 v[27:28], v[150:151], v[134:135]
	;; [unrolled: 1-line block ×3, first 2 shown]
	s_delay_alu instid0(VALU_DEP_4)
	v_fma_f64 v[128:129], v[230:231], v[31:32], v[20:21]
	v_add_f64 v[31:32], v[180:181], v[188:189]
	v_add_f64 v[20:21], v[222:223], v[226:227]
	v_add_f64 v[10:11], v[130:131], -v[18:19]
	v_add_f64 v[18:19], v[240:241], -v[238:239]
	v_add_f64 v[228:229], v[236:237], v[57:58]
	v_add_f64 v[242:243], v[16:17], v[128:129]
	;; [unrolled: 1-line block ×5, first 2 shown]
	v_add_f64 v[8:9], v[128:129], -v[16:17]
	v_add_f64 v[14:15], v[232:233], -v[236:237]
	v_add_f64 v[16:17], v[236:237], -v[234:235]
	v_add_f64 v[60:61], v[112:113], v[228:229]
	v_add_f64 v[112:113], v[180:181], -v[188:189]
	v_add_f64 v[230:231], v[242:243], v[57:58]
	v_add_f64 v[57:58], v[182:183], -v[192:193]
	v_add_f64 v[182:183], v[226:227], -v[222:223]
	v_add_f64 v[35:36], v[33:34], v[35:36]
	v_add_f64 v[192:193], v[178:179], -v[198:199]
	v_add_f64 v[188:189], v[176:177], -v[196:197]
	v_add_f64 v[198:199], v[31:32], -v[29:30]
	v_add_f64 v[31:32], v[33:34], -v[31:32]
	v_add_f64 v[180:181], v[224:225], -v[220:221]
	v_add_f64 v[29:30], v[29:30], -v[33:34]
	v_add_f64 v[196:197], v[150:151], -v[134:135]
	v_add_f64 v[150:151], v[20:21], -v[150:151]
	v_add_f64 v[20:21], v[134:135], -v[20:21]
	v_add_f64 v[124:125], v[124:125], v[27:28]
	v_add_f64 v[62:63], v[114:115], v[230:231]
	;; [unrolled: 1-line block ×3, first 2 shown]
	v_add_f64 v[176:177], v[182:183], -v[57:58]
	v_add_f64 v[126:127], v[126:127], v[35:36]
	v_add_f64 v[57:58], v[57:58], -v[192:193]
	v_add_f64 v[33:34], v[192:193], -v[182:183]
	;; [unrolled: 1-line block ×3, first 2 shown]
	v_add_f64 v[178:179], v[180:181], v[112:113]
	v_mul_f64 v[29:30], v[29:30], s[22:23]
	v_add_f64 v[220:221], v[180:181], -v[112:113]
	v_mul_f64 v[112:113], v[150:151], s[14:15]
	v_mul_f64 v[20:21], v[20:21], s[22:23]
	v_fma_f64 v[27:28], v[27:28], s[10:11], v[124:125]
	v_add_f64 v[224:225], v[114:115], v[192:193]
	v_mul_f64 v[64:65], v[176:177], s[20:21]
	v_mul_f64 v[114:115], v[31:32], s[14:15]
	v_fma_f64 v[35:36], v[35:36], s[10:11], v[126:127]
	v_mul_f64 v[70:71], v[222:223], s[18:19]
	v_add_f64 v[226:227], v[178:179], v[188:189]
	v_mul_f64 v[66:67], v[220:221], s[20:21]
	v_fma_f64 v[112:113], v[196:197], s[16:17], -v[112:113]
	v_fma_f64 v[134:135], v[196:197], s[24:25], -v[20:21]
	v_fma_f64 v[20:21], v[150:151], s[14:15], v[20:21]
	v_fma_f64 v[176:177], v[57:58], s[18:19], -v[64:65]
	v_fma_f64 v[114:115], v[198:199], s[16:17], -v[114:115]
	v_mul_f64 v[57:58], v[57:58], s[18:19]
	v_add_f64 v[220:221], v[112:113], v[27:28]
	v_add_f64 v[134:135], v[134:135], v[27:28]
	;; [unrolled: 1-line block ×3, first 2 shown]
	v_fma_f64 v[178:179], v[224:225], s[12:13], v[176:177]
	v_add_f64 v[68:69], v[114:115], v[35:36]
	v_fma_f64 v[57:58], v[33:34], s[28:29], -v[57:58]
	v_fma_f64 v[176:177], v[222:223], s[18:19], -v[66:67]
	v_fma_f64 v[33:34], v[33:34], s[26:27], v[64:65]
	v_add_f64 v[64:65], v[47:48], -v[45:46]
	v_add_f64 v[47:48], v[49:50], -v[47:48]
	v_add_f64 v[114:115], v[178:179], v[68:69]
	v_add_f64 v[178:179], v[68:69], -v[178:179]
	v_add_f64 v[68:69], v[188:189], -v[180:181]
	v_fma_f64 v[180:181], v[198:199], s[24:25], -v[29:30]
	v_fma_f64 v[57:58], v[224:225], s[12:13], v[57:58]
	v_fma_f64 v[29:30], v[31:32], s[14:15], v[29:30]
	;; [unrolled: 1-line block ×4, first 2 shown]
	v_fma_f64 v[70:71], v[68:69], s[28:29], -v[70:71]
	v_add_f64 v[188:189], v[180:181], v[35:36]
	v_add_f64 v[27:28], v[29:30], v[35:36]
	v_add_f64 v[112:113], v[220:221], -v[176:177]
	v_add_f64 v[176:177], v[176:177], v[220:221]
	v_add_f64 v[29:30], v[206:207], -v[218:219]
	v_add_f64 v[35:36], v[204:205], -v[216:217]
	v_fma_f64 v[70:71], v[226:227], s[12:13], v[70:71]
	v_add_f64 v[182:183], v[188:189], -v[57:58]
	v_add_f64 v[198:199], v[57:58], v[188:189]
	v_fma_f64 v[57:58], v[68:69], s[26:27], v[66:67]
	v_add_f64 v[222:223], v[27:28], -v[31:32]
	v_add_f64 v[180:181], v[70:71], v[134:135]
	v_add_f64 v[196:197], v[134:135], -v[70:71]
	s_delay_alu instid0(VALU_DEP_4)
	v_fma_f64 v[33:34], v[226:227], s[12:13], v[57:58]
	v_add_f64 v[226:227], v[31:32], v[27:28]
	v_add_f64 v[27:28], v[166:167], -v[172:173]
	v_add_f64 v[31:32], v[208:209], -v[212:213]
	;; [unrolled: 1-line block ×6, first 2 shown]
	v_add_f64 v[220:221], v[33:34], v[20:21]
	v_add_f64 v[224:225], v[20:21], -v[33:34]
	v_add_f64 v[20:21], v[210:211], -v[214:215]
	;; [unrolled: 1-line block ×3, first 2 shown]
	v_mul_f64 v[164:165], v[47:48], s[14:15]
	v_mul_f64 v[150:151], v[39:40], s[14:15]
	s_delay_alu instid0(VALU_DEP_4)
	v_add_f64 v[68:69], v[27:28], -v[20:21]
	v_add_f64 v[66:67], v[27:28], v[20:21]
	v_add_f64 v[20:21], v[20:21], -v[29:30]
	v_add_f64 v[134:135], v[33:34], -v[31:32]
	v_add_f64 v[70:71], v[33:34], v[31:32]
	v_add_f64 v[31:32], v[31:32], -v[35:36]
	v_add_f64 v[27:28], v[29:30], -v[27:28]
	v_fma_f64 v[150:151], v[57:58], s[16:17], -v[150:151]
	v_fma_f64 v[164:165], v[64:65], s[16:17], -v[164:165]
	v_mul_f64 v[68:69], v[68:69], s[20:21]
	v_add_f64 v[66:67], v[66:67], v[29:30]
	v_add_f64 v[29:30], v[35:36], -v[33:34]
	v_mul_f64 v[134:135], v[134:135], s[20:21]
	v_add_f64 v[70:71], v[70:71], v[35:36]
	v_mul_f64 v[33:34], v[37:38], s[22:23]
	v_mul_f64 v[35:36], v[41:42], s[22:23]
	v_add_f64 v[150:151], v[150:151], v[43:44]
	v_add_f64 v[188:189], v[164:165], v[51:52]
	v_fma_f64 v[166:167], v[20:21], s[18:19], -v[68:69]
	v_mul_f64 v[20:21], v[20:21], s[18:19]
	v_fma_f64 v[37:38], v[57:58], s[24:25], -v[33:34]
	v_fma_f64 v[41:42], v[64:65], s[24:25], -v[35:36]
	v_fma_f64 v[57:58], v[252:253], s[10:11], v[116:117]
	v_fma_f64 v[64:65], v[254:255], s[10:11], v[118:119]
	;; [unrolled: 1-line block ×3, first 2 shown]
	v_fma_f64 v[166:167], v[31:32], s[18:19], -v[134:135]
	v_mul_f64 v[31:32], v[31:32], s[18:19]
	v_fma_f64 v[20:21], v[27:28], s[28:29], -v[20:21]
	v_add_f64 v[37:38], v[37:38], v[43:44]
	v_add_f64 v[41:42], v[41:42], v[51:52]
	v_fma_f64 v[172:173], v[70:71], s[12:13], v[166:167]
	v_fma_f64 v[31:32], v[29:30], s[28:29], -v[31:32]
	v_fma_f64 v[20:21], v[66:67], s[12:13], v[20:21]
	v_add_f64 v[166:167], v[174:175], v[188:189]
	v_add_f64 v[174:175], v[188:189], -v[174:175]
	v_add_f64 v[164:165], v[150:151], -v[172:173]
	v_fma_f64 v[31:32], v[70:71], s[12:13], v[31:32]
	v_add_f64 v[206:207], v[41:42], -v[20:21]
	v_add_f64 v[210:211], v[20:21], v[41:42]
	v_fma_f64 v[20:21], v[27:28], s[26:27], v[68:69]
	v_fma_f64 v[27:28], v[29:30], s[26:27], v[134:135]
	;; [unrolled: 1-line block ×3, first 2 shown]
	v_add_f64 v[33:34], v[132:133], -v[136:137]
	v_add_f64 v[39:40], v[246:247], -v[53:54]
	;; [unrolled: 1-line block ×3, first 2 shown]
	v_add_f64 v[172:173], v[172:173], v[150:151]
	v_add_f64 v[204:205], v[31:32], v[37:38]
	v_add_f64 v[208:209], v[37:38], -v[31:32]
	v_fma_f64 v[31:32], v[47:48], s[14:15], v[35:36]
	v_fma_f64 v[20:21], v[66:67], s[12:13], v[20:21]
	;; [unrolled: 1-line block ×3, first 2 shown]
	v_add_f64 v[29:30], v[29:30], v[43:44]
	v_add_f64 v[35:36], v[184:185], -v[170:171]
	v_add_f64 v[43:44], v[250:251], -v[55:56]
	;; [unrolled: 1-line block ×3, first 2 shown]
	v_mul_f64 v[53:54], v[39:40], s[14:15]
	v_add_f64 v[31:32], v[31:32], v[51:52]
	v_add_f64 v[212:213], v[27:28], v[29:30]
	v_add_f64 v[216:217], v[29:30], -v[27:28]
	v_add_f64 v[27:28], v[148:149], -v[138:139]
	;; [unrolled: 1-line block ×3, first 2 shown]
	v_mul_f64 v[55:56], v[43:44], s[14:15]
	v_fma_f64 v[53:54], v[37:38], s[16:17], -v[53:54]
	v_add_f64 v[214:215], v[31:32], -v[20:21]
	v_add_f64 v[218:219], v[20:21], v[31:32]
	v_add_f64 v[20:21], v[194:195], -v[200:201]
	v_add_f64 v[31:32], v[190:191], -v[168:169]
	v_fma_f64 v[55:56], v[41:42], s[16:17], -v[55:56]
	v_add_f64 v[53:54], v[53:54], v[57:58]
	s_delay_alu instid0(VALU_DEP_4) | instskip(NEXT) | instid1(VALU_DEP_4)
	v_add_f64 v[47:48], v[27:28], -v[20:21]
	v_add_f64 v[51:52], v[33:34], -v[31:32]
	v_add_f64 v[45:46], v[27:28], v[20:21]
	v_add_f64 v[20:21], v[20:21], -v[29:30]
	v_add_f64 v[49:50], v[33:34], v[31:32]
	v_add_f64 v[31:32], v[31:32], -v[35:36]
	v_add_f64 v[55:56], v[55:56], v[64:65]
	v_add_f64 v[27:28], v[29:30], -v[27:28]
	v_mul_f64 v[47:48], v[47:48], s[20:21]
	v_mul_f64 v[51:52], v[51:52], s[20:21]
	v_add_f64 v[45:46], v[45:46], v[29:30]
	v_add_f64 v[29:30], v[35:36], -v[33:34]
	v_add_f64 v[49:50], v[49:50], v[35:36]
	v_fma_f64 v[66:67], v[20:21], s[18:19], -v[47:48]
	v_fma_f64 v[68:69], v[31:32], s[18:19], -v[51:52]
	v_mul_f64 v[20:21], v[20:21], s[18:19]
	v_mul_f64 v[31:32], v[31:32], s[18:19]
	s_delay_alu instid0(VALU_DEP_4) | instskip(NEXT) | instid1(VALU_DEP_4)
	v_fma_f64 v[66:67], v[45:46], s[12:13], v[66:67]
	v_fma_f64 v[68:69], v[49:50], s[12:13], v[68:69]
	s_delay_alu instid0(VALU_DEP_4) | instskip(NEXT) | instid1(VALU_DEP_4)
	v_fma_f64 v[20:21], v[27:28], s[28:29], -v[20:21]
	v_fma_f64 v[31:32], v[29:30], s[28:29], -v[31:32]
	s_delay_alu instid0(VALU_DEP_4) | instskip(NEXT) | instid1(VALU_DEP_4)
	v_add_f64 v[134:135], v[66:67], v[55:56]
	v_add_f64 v[132:133], v[53:54], -v[68:69]
	v_add_f64 v[136:137], v[68:69], v[53:54]
	v_add_f64 v[138:139], v[55:56], -v[66:67]
	v_add_f64 v[53:54], v[244:245], -v[246:247]
	;; [unrolled: 1-line block ×3, first 2 shown]
	v_fma_f64 v[20:21], v[45:46], s[12:13], v[20:21]
	v_fma_f64 v[31:32], v[49:50], s[12:13], v[31:32]
	s_delay_alu instid0(VALU_DEP_4) | instskip(NEXT) | instid1(VALU_DEP_4)
	v_mul_f64 v[33:34], v[53:54], s[22:23]
	v_mul_f64 v[35:36], v[55:56], s[22:23]
	s_delay_alu instid0(VALU_DEP_2) | instskip(NEXT) | instid1(VALU_DEP_2)
	v_fma_f64 v[37:38], v[37:38], s[24:25], -v[33:34]
	v_fma_f64 v[41:42], v[41:42], s[24:25], -v[35:36]
	s_delay_alu instid0(VALU_DEP_2) | instskip(NEXT) | instid1(VALU_DEP_2)
	v_add_f64 v[37:38], v[37:38], v[57:58]
	v_add_f64 v[41:42], v[41:42], v[64:65]
	s_delay_alu instid0(VALU_DEP_2) | instskip(NEXT) | instid1(VALU_DEP_2)
	v_add_f64 v[148:149], v[31:32], v[37:38]
	v_add_f64 v[150:151], v[41:42], -v[20:21]
	v_add_f64 v[168:169], v[37:38], -v[31:32]
	v_add_f64 v[170:171], v[20:21], v[41:42]
	v_fma_f64 v[20:21], v[27:28], s[26:27], v[47:48]
	v_fma_f64 v[31:32], v[43:44], s[14:15], v[35:36]
	;; [unrolled: 1-line block ×4, first 2 shown]
	s_delay_alu instid0(VALU_DEP_4) | instskip(NEXT) | instid1(VALU_DEP_4)
	v_fma_f64 v[20:21], v[45:46], s[12:13], v[20:21]
	v_add_f64 v[31:32], v[31:32], v[64:65]
	s_delay_alu instid0(VALU_DEP_4) | instskip(NEXT) | instid1(VALU_DEP_4)
	v_fma_f64 v[27:28], v[49:50], s[12:13], v[27:28]
	v_add_f64 v[29:30], v[29:30], v[57:58]
	s_delay_alu instid0(VALU_DEP_3) | instskip(SKIP_2) | instid1(VALU_DEP_4)
	v_add_f64 v[186:187], v[31:32], -v[20:21]
	v_add_f64 v[190:191], v[20:21], v[31:32]
	v_cndmask_b32_e64 v20, 0, 0x13b, s1
	v_add_f64 v[184:185], v[27:28], v[29:30]
	v_add_f64 v[188:189], v[29:30], -v[27:28]
	v_add_f64 v[28:29], v[8:9], -v[4:5]
	s_delay_alu instid0(VALU_DEP_4)
	v_add_lshl_u32 v20, v22, v20, 4
	ds_store_b128 v20, v[124:127]
	ds_store_b128 v20, v[220:223] offset:720
	ds_store_b128 v20, v[180:183] offset:1440
	;; [unrolled: 1-line block ×5, first 2 shown]
	scratch_store_b32 off, v20, off offset:1380 ; 4-byte Folded Spill
	ds_store_b128 v20, v[224:227] offset:4320
	v_and_b32_e32 v20, 0xffff, v23
	v_add_f64 v[22:23], v[242:243], -v[240:241]
	s_delay_alu instid0(VALU_DEP_2) | instskip(NEXT) | instid1(VALU_DEP_1)
	v_mul_u32_u24_e32 v20, 0x13b, v20
	v_add_lshl_u32 v20, v20, v24, 4
	ds_store_b128 v20, v[120:123]
	ds_store_b128 v20, v[212:215] offset:720
	ds_store_b128 v20, v[204:207] offset:1440
	;; [unrolled: 1-line block ×5, first 2 shown]
	scratch_store_b32 off, v20, off offset:1376 ; 4-byte Folded Spill
	ds_store_b128 v20, v[216:219] offset:4320
	v_and_b32_e32 v20, 0xffff, v25
	v_add_f64 v[24:25], v[10:11], v[6:7]
	s_delay_alu instid0(VALU_DEP_2) | instskip(NEXT) | instid1(VALU_DEP_1)
	v_mul_u32_u24_e32 v20, 0x13b, v20
	v_add_lshl_u32 v20, v20, v26, 4
	v_add_f64 v[26:27], v[10:11], -v[6:7]
	v_add_f64 v[10:11], v[0:1], -v[10:11]
	v_add_f64 v[6:7], v[6:7], -v[0:1]
	ds_store_b128 v20, v[116:119]
	ds_store_b128 v20, v[184:187] offset:720
	ds_store_b128 v20, v[148:151] offset:1440
	ds_store_b128 v20, v[132:135] offset:2160
	ds_store_b128 v20, v[136:139] offset:2880
	ds_store_b128 v20, v[168:171] offset:3600
	scratch_store_b32 off, v20, off offset:1372 ; 4-byte Folded Spill
	ds_store_b128 v20, v[188:191] offset:4320
	v_add_f64 v[20:21], v[238:239], -v[242:243]
	v_add_f64 v[0:1], v[24:25], v[0:1]
	v_add_f64 v[24:25], v[8:9], v[4:5]
	v_add_f64 v[8:9], v[2:3], -v[8:9]
	v_add_f64 v[4:5], v[4:5], -v[2:3]
	s_delay_alu instid0(VALU_DEP_3) | instskip(SKIP_2) | instid1(VALU_DEP_2)
	v_add_f64 v[24:25], v[24:25], v[2:3]
	v_mul_f64 v[2:3], v[14:15], s[22:23]
	v_mul_f64 v[14:15], v[16:17], s[14:15]
	v_fma_f64 v[16:17], v[16:17], s[14:15], v[2:3]
	s_delay_alu instid0(VALU_DEP_2) | instskip(SKIP_4) | instid1(VALU_DEP_3)
	v_fma_f64 v[30:31], v[12:13], s[16:17], -v[14:15]
	v_fma_f64 v[12:13], v[12:13], s[24:25], -v[2:3]
	v_mul_f64 v[2:3], v[26:27], s[20:21]
	v_mul_f64 v[14:15], v[6:7], s[18:19]
	v_mul_f64 v[26:27], v[4:5], s[18:19]
	v_fma_f64 v[6:7], v[6:7], s[18:19], -v[2:3]
	v_fma_f64 v[2:3], v[10:11], s[26:27], v[2:3]
	s_delay_alu instid0(VALU_DEP_4) | instskip(SKIP_1) | instid1(VALU_DEP_3)
	v_fma_f64 v[10:11], v[10:11], s[28:29], -v[14:15]
	v_mul_f64 v[14:15], v[28:29], s[20:21]
	v_fma_f64 v[2:3], v[0:1], s[12:13], v[2:3]
	s_delay_alu instid0(VALU_DEP_2) | instskip(SKIP_4) | instid1(VALU_DEP_4)
	v_fma_f64 v[28:29], v[4:5], s[18:19], -v[14:15]
	v_fma_f64 v[4:5], v[8:9], s[26:27], v[14:15]
	v_mul_f64 v[14:15], v[20:21], s[22:23]
	v_fma_f64 v[8:9], v[8:9], s[28:29], -v[26:27]
	v_mul_f64 v[20:21], v[22:23], s[14:15]
	v_fma_f64 v[4:5], v[24:25], s[12:13], v[4:5]
	s_delay_alu instid0(VALU_DEP_4) | instskip(SKIP_1) | instid1(VALU_DEP_4)
	v_fma_f64 v[26:27], v[22:23], s[14:15], v[14:15]
	v_fma_f64 v[22:23], v[228:229], s[10:11], v[60:61]
	v_fma_f64 v[20:21], v[18:19], s[16:17], -v[20:21]
	v_fma_f64 v[32:33], v[18:19], s[24:25], -v[14:15]
	v_fma_f64 v[14:15], v[0:1], s[12:13], v[10:11]
	v_fma_f64 v[18:19], v[0:1], s[12:13], v[6:7]
	;; [unrolled: 1-line block ×4, first 2 shown]
	v_add_f64 v[10:11], v[12:13], v[22:23]
	v_add_f64 v[12:13], v[16:17], v[22:23]
	v_fma_f64 v[16:17], v[230:231], s[10:11], v[62:63]
	v_add_f64 v[8:9], v[30:31], v[22:23]
	s_delay_alu instid0(VALU_DEP_4) | instskip(NEXT) | instid1(VALU_DEP_4)
	v_add_f64 v[172:173], v[10:11], -v[6:7]
	v_add_f64 v[24:25], v[12:13], -v[4:5]
	s_delay_alu instid0(VALU_DEP_4) | instskip(SKIP_3) | instid1(VALU_DEP_4)
	v_add_f64 v[22:23], v[20:21], v[16:17]
	v_add_f64 v[20:21], v[32:33], v[16:17]
	;; [unrolled: 1-line block ×4, first 2 shown]
	v_add_f64 v[170:171], v[22:23], -v[18:19]
	s_delay_alu instid0(VALU_DEP_4) | instskip(NEXT) | instid1(VALU_DEP_4)
	v_add_f64 v[174:175], v[14:15], v[20:21]
	v_add_f64 v[26:27], v[2:3], v[16:17]
	scratch_store_b128 off, v[24:27], off offset:8 ; 16-byte Folded Spill
	s_and_saveexec_b32 s1, s0
	s_cbranch_execz .LBB0_15
; %bb.14:
	v_add_f64 v[18:19], v[18:19], v[22:23]
	v_add_f64 v[22:23], v[16:17], -v[2:3]
	v_add_f64 v[16:17], v[8:9], -v[0:1]
	scratch_load_b32 v0, off, off offset:640 ; 4-byte Folded Reload
	v_add_f64 v[14:15], v[20:21], -v[14:15]
	v_add_f64 v[20:21], v[4:5], v[12:13]
	v_add_f64 v[12:13], v[6:7], v[10:11]
	s_waitcnt vmcnt(0)
	v_lshlrev_b32_e32 v0, 4, v0
	ds_store_b128 v0, v[168:171] offset:23040
	ds_store_b128 v0, v[172:175] offset:23760
	;; [unrolled: 1-line block ×6, first 2 shown]
	scratch_load_b128 v[1:4], off, off offset:8 ; 16-byte Folded Reload
	s_waitcnt vmcnt(0)
	ds_store_b128 v0, v[1:4] offset:24480
.LBB0_15:
	s_or_b32 exec_lo, exec_lo, s1
	scratch_load_b32 v0, off, off           ; 4-byte Folded Reload
	v_lshlrev_b32_e32 v2, 6, v109
	s_waitcnt vmcnt(0) lgkmcnt(0)
	s_waitcnt_vscnt null, 0x0
	s_barrier
	buffer_gl0_inv
	s_mov_b32 s12, 0x134454ff
	s_mov_b32 s13, 0x3fee6f0e
	;; [unrolled: 1-line block ×7, first 2 shown]
	v_lshlrev_b32_e32 v0, 6, v0
	s_delay_alu instid0(VALU_DEP_1) | instskip(NEXT) | instid1(VALU_DEP_1)
	v_add_co_u32 v3, s1, s2, v0
	v_add_co_ci_u32_e64 v4, null, s3, 0, s1
	s_delay_alu instid0(VALU_DEP_2) | instskip(NEXT) | instid1(VALU_DEP_1)
	v_add_co_u32 v0, s1, 0x1000, v3
	v_add_co_ci_u32_e64 v1, s1, 0, v4, s1
	v_add_co_u32 v5, s1, s2, v2
	s_delay_alu instid0(VALU_DEP_1) | instskip(SKIP_3) | instid1(VALU_DEP_1)
	v_add_co_ci_u32_e64 v6, null, s3, 0, s1
	v_lshlrev_b32_e32 v2, 6, v110
	global_load_b128 v[50:53], v[0:1], off offset:896
	v_add_co_u32 v0, s1, 0x1000, v5
	v_add_co_ci_u32_e64 v1, s1, 0, v6, s1
	v_add_co_u32 v7, s1, s2, v2
	s_delay_alu instid0(VALU_DEP_1) | instskip(SKIP_2) | instid1(VALU_DEP_1)
	v_add_co_ci_u32_e64 v8, null, s3, 0, s1
	global_load_b128 v[64:67], v[0:1], off offset:896
	v_add_co_u32 v0, s1, 0x1000, v7
	v_add_co_ci_u32_e64 v1, s1, 0, v8, s1
	v_add_co_u32 v2, s1, 0x1380, v3
	s_delay_alu instid0(VALU_DEP_1) | instskip(SKIP_2) | instid1(VALU_DEP_1)
	v_add_co_ci_u32_e64 v3, s1, 0, v4, s1
	global_load_b128 v[54:57], v[0:1], off offset:896
	v_add_co_u32 v0, s1, 0x1380, v5
	v_add_co_ci_u32_e64 v1, s1, 0, v6, s1
	s_clause 0x2
	global_load_b128 v[60:63], v[2:3], off offset:16
	global_load_b128 v[132:135], v[0:1], off offset:16
	;; [unrolled: 1-line block ×3, first 2 shown]
	v_add_co_u32 v4, s1, 0x1380, v7
	s_delay_alu instid0(VALU_DEP_1)
	v_add_co_ci_u32_e64 v5, s1, 0, v8, s1
	s_clause 0x5
	global_load_b128 v[68:71], v[4:5], off offset:16
	global_load_b128 v[176:179], v[2:3], off offset:48
	;; [unrolled: 1-line block ×6, first 2 shown]
	ds_load_b128 v[120:123], v108 offset:5040
	ds_load_b128 v[116:119], v108 offset:6048
	;; [unrolled: 1-line block ×10, first 2 shown]
	s_waitcnt vmcnt(11) lgkmcnt(9)
	v_mul_f64 v[24:25], v[122:123], v[52:53]
	v_mul_f64 v[26:27], v[120:121], v[52:53]
	scratch_store_b128 off, v[50:53], off offset:652 ; 16-byte Folded Spill
	s_waitcnt vmcnt(10) lgkmcnt(8)
	v_mul_f64 v[28:29], v[118:119], v[66:67]
	v_mul_f64 v[30:31], v[116:117], v[66:67]
	scratch_store_b128 off, v[64:67], off offset:712 ; 16-byte Folded Spill
	;; [unrolled: 4-line block ×3, first 2 shown]
	s_waitcnt vmcnt(8) lgkmcnt(5)
	v_mul_f64 v[36:37], v[6:7], v[62:63]
	v_mul_f64 v[38:39], v[4:5], v[62:63]
	s_waitcnt vmcnt(7) lgkmcnt(4)
	v_mul_f64 v[40:41], v[10:11], v[134:135]
	v_mul_f64 v[42:43], v[8:9], v[134:135]
	;; [unrolled: 3-line block ×3, first 2 shown]
	s_waitcnt vmcnt(5) lgkmcnt(2)
	v_mul_f64 v[52:53], v[18:19], v[70:71]
	s_clause 0x1
	scratch_store_b128 off, v[132:135], off offset:776
	scratch_store_b128 off, v[68:71], off offset:760
	s_waitcnt vmcnt(4)
	scratch_store_b128 off, v[176:179], off offset:824 ; 16-byte Folded Spill
	s_waitcnt vmcnt(3)
	scratch_store_b128 off, v[164:167], off offset:808 ; 16-byte Folded Spill
	;; [unrolled: 2-line block ×4, first 2 shown]
	v_fma_f64 v[48:49], v[120:121], v[50:51], -v[24:25]
	v_fma_f64 v[50:51], v[122:123], v[50:51], v[26:27]
	ds_load_b128 v[24:27], v108 offset:20160
	v_fma_f64 v[28:29], v[116:117], v[64:65], -v[28:29]
	v_fma_f64 v[30:31], v[118:119], v[64:65], v[30:31]
	ds_load_b128 v[116:119], v108 offset:21168
	v_fma_f64 v[32:33], v[112:113], v[54:55], -v[32:33]
	v_fma_f64 v[34:35], v[114:115], v[54:55], v[34:35]
	v_mul_f64 v[54:55], v[16:17], v[70:71]
	v_fma_f64 v[36:37], v[4:5], v[60:61], -v[36:37]
	v_fma_f64 v[38:39], v[6:7], v[60:61], v[38:39]
	ds_load_b128 v[4:7], v108 offset:16128
	v_fma_f64 v[40:41], v[8:9], v[132:133], -v[40:41]
	v_fma_f64 v[42:43], v[10:11], v[132:133], v[42:43]
	ds_load_b128 v[8:11], v108 offset:17136
	s_waitcnt lgkmcnt(3)
	v_mul_f64 v[56:57], v[24:25], v[178:179]
	v_fma_f64 v[44:45], v[12:13], v[148:149], -v[44:45]
	v_mul_f64 v[58:59], v[26:27], v[178:179]
	v_fma_f64 v[46:47], v[14:15], v[148:149], v[46:47]
	v_fma_f64 v[52:53], v[16:17], v[68:69], -v[52:53]
	s_waitcnt lgkmcnt(2)
	v_mul_f64 v[16:17], v[118:119], v[138:139]
	s_waitcnt lgkmcnt(1)
	v_mul_f64 v[12:13], v[6:7], v[166:167]
	v_mul_f64 v[14:15], v[4:5], v[166:167]
	v_fma_f64 v[54:55], v[18:19], v[68:69], v[54:55]
	v_fma_f64 v[26:27], v[26:27], v[176:177], v[56:57]
	v_add_f64 v[182:183], v[36:37], -v[44:45]
	v_fma_f64 v[24:25], v[24:25], v[176:177], -v[58:59]
	v_add_f64 v[178:179], v[38:39], -v[46:47]
	v_fma_f64 v[64:65], v[116:117], v[136:137], -v[16:17]
	v_fma_f64 v[56:57], v[4:5], v[164:165], -v[12:13]
	v_mul_f64 v[4:5], v[116:117], v[138:139]
	v_fma_f64 v[58:59], v[6:7], v[164:165], v[14:15]
	s_waitcnt lgkmcnt(0)
	v_mul_f64 v[6:7], v[10:11], v[130:131]
	v_add_f64 v[176:177], v[50:51], -v[26:27]
	v_add_f64 v[180:181], v[48:49], -v[24:25]
	;; [unrolled: 1-line block ×3, first 2 shown]
	v_fma_f64 v[66:67], v[118:119], v[136:137], v[4:5]
	v_mul_f64 v[4:5], v[8:9], v[130:131]
	v_fma_f64 v[68:69], v[8:9], v[128:129], -v[6:7]
	s_delay_alu instid0(VALU_DEP_2)
	v_fma_f64 v[70:71], v[10:11], v[128:129], v[4:5]
	ds_load_b128 v[4:7], v108 offset:22176
	ds_load_b128 v[8:11], v108 offset:23184
	s_waitcnt vmcnt(0)
	scratch_store_b128 off, v[72:75], off offset:728 ; 16-byte Folded Spill
	s_waitcnt lgkmcnt(1)
	v_mul_f64 v[12:13], v[6:7], v[74:75]
	s_delay_alu instid0(VALU_DEP_1) | instskip(SKIP_1) | instid1(VALU_DEP_1)
	v_fma_f64 v[109:110], v[4:5], v[72:73], -v[12:13]
	v_mul_f64 v[4:5], v[4:5], v[74:75]
	v_fma_f64 v[212:213], v[6:7], v[72:73], v[4:5]
	scratch_load_b32 v4, off, off offset:1392 ; 4-byte Folded Reload
	s_waitcnt vmcnt(0)
	v_lshlrev_b32_e32 v4, 6, v4
	s_delay_alu instid0(VALU_DEP_1) | instskip(NEXT) | instid1(VALU_DEP_1)
	v_add_co_u32 v6, s1, s2, v4
	v_add_co_ci_u32_e64 v7, null, s3, 0, s1
	s_delay_alu instid0(VALU_DEP_2) | instskip(NEXT) | instid1(VALU_DEP_1)
	v_add_co_u32 v4, s1, 0x1000, v6
	v_add_co_ci_u32_e64 v5, s1, 0, v7, s1
	v_add_co_u32 v16, s1, 0x1380, v6
	s_delay_alu instid0(VALU_DEP_1)
	v_add_co_ci_u32_e64 v17, s1, 0, v7, s1
	global_load_b128 v[120:123], v[4:5], off offset:896
	ds_load_b128 v[4:7], v108 offset:8064
	ds_load_b128 v[12:15], v108 offset:9072
	s_clause 0x2
	global_load_b128 v[112:115], v[16:17], off offset:48
	global_load_b128 v[128:131], v[16:17], off offset:16
	;; [unrolled: 1-line block ×3, first 2 shown]
	s_waitcnt vmcnt(3) lgkmcnt(1)
	v_mul_f64 v[18:19], v[6:7], v[122:123]
	s_delay_alu instid0(VALU_DEP_1) | instskip(SKIP_1) | instid1(VALU_DEP_1)
	v_fma_f64 v[228:229], v[4:5], v[120:121], -v[18:19]
	v_mul_f64 v[4:5], v[4:5], v[122:123]
	v_fma_f64 v[230:231], v[6:7], v[120:121], v[4:5]
	s_waitcnt vmcnt(1)
	v_mul_f64 v[4:5], v[126:127], v[130:131]
	s_delay_alu instid0(VALU_DEP_1) | instskip(SKIP_1) | instid1(VALU_DEP_1)
	v_fma_f64 v[232:233], v[124:125], v[128:129], -v[4:5]
	v_mul_f64 v[4:5], v[124:125], v[130:131]
	v_fma_f64 v[234:235], v[126:127], v[128:129], v[4:5]
	ds_load_b128 v[4:7], v108 offset:18144
	ds_load_b128 v[16:19], v108 offset:19152
	s_waitcnt vmcnt(0) lgkmcnt(1)
	v_mul_f64 v[124:125], v[6:7], v[118:119]
	s_delay_alu instid0(VALU_DEP_1) | instskip(SKIP_1) | instid1(VALU_DEP_1)
	v_fma_f64 v[236:237], v[4:5], v[116:117], -v[124:125]
	v_mul_f64 v[4:5], v[4:5], v[118:119]
	v_fma_f64 v[238:239], v[6:7], v[116:117], v[4:5]
	v_mul_f64 v[4:5], v[10:11], v[114:115]
	s_delay_alu instid0(VALU_DEP_1) | instskip(SKIP_1) | instid1(VALU_DEP_1)
	v_fma_f64 v[240:241], v[8:9], v[112:113], -v[4:5]
	v_mul_f64 v[4:5], v[8:9], v[114:115]
	v_fma_f64 v[242:243], v[10:11], v[112:113], v[4:5]
	scratch_load_b32 v4, off, off offset:1384 ; 4-byte Folded Reload
	s_waitcnt vmcnt(0)
	v_lshlrev_b32_e32 v4, 6, v4
	s_delay_alu instid0(VALU_DEP_1) | instskip(NEXT) | instid1(VALU_DEP_1)
	v_add_co_u32 v6, s1, s2, v4
	v_add_co_ci_u32_e64 v7, null, s3, 0, s1
	s_mov_b32 s2, 0x4755a5e
	s_delay_alu instid0(VALU_DEP_2) | instskip(NEXT) | instid1(VALU_DEP_1)
	v_add_co_u32 v4, s1, 0x1000, v6
	v_add_co_ci_u32_e64 v5, s1, 0, v7, s1
	v_add_co_u32 v6, s1, 0x1380, v6
	s_delay_alu instid0(VALU_DEP_1)
	v_add_co_ci_u32_e64 v7, s1, 0, v7, s1
	s_clause 0x3
	global_load_b128 v[136:139], v[4:5], off offset:896
	global_load_b128 v[124:127], v[6:7], off offset:48
	;; [unrolled: 1-line block ×4, first 2 shown]
	s_mov_b32 s3, 0x3fe2cf23
	s_mov_b32 s10, s2
	s_waitcnt vmcnt(3)
	v_mul_f64 v[4:5], v[14:15], v[138:139]
	s_delay_alu instid0(VALU_DEP_1) | instskip(SKIP_2) | instid1(VALU_DEP_2)
	v_fma_f64 v[244:245], v[12:13], v[136:137], -v[4:5]
	v_mul_f64 v[4:5], v[12:13], v[138:139]
	v_add_f64 v[12:13], v[36:37], v[44:45]
	v_fma_f64 v[246:247], v[14:15], v[136:137], v[4:5]
	s_waitcnt vmcnt(1)
	v_mul_f64 v[4:5], v[22:23], v[166:167]
	s_delay_alu instid0(VALU_DEP_1) | instskip(SKIP_1) | instid1(VALU_DEP_1)
	v_fma_f64 v[248:249], v[20:21], v[164:165], -v[4:5]
	v_mul_f64 v[4:5], v[20:21], v[166:167]
	v_fma_f64 v[250:251], v[22:23], v[164:165], v[4:5]
	s_waitcnt vmcnt(0) lgkmcnt(0)
	v_mul_f64 v[4:5], v[18:19], v[134:135]
	s_delay_alu instid0(VALU_DEP_1) | instskip(SKIP_1) | instid1(VALU_DEP_1)
	v_fma_f64 v[252:253], v[16:17], v[132:133], -v[4:5]
	v_mul_f64 v[4:5], v[16:17], v[134:135]
	v_fma_f64 v[254:255], v[18:19], v[132:133], v[4:5]
	ds_load_b128 v[4:7], v108 offset:24192
	s_waitcnt lgkmcnt(0)
	v_mul_f64 v[8:9], v[6:7], v[126:127]
	s_delay_alu instid0(VALU_DEP_1) | instskip(SKIP_1) | instid1(VALU_DEP_1)
	v_fma_f64 v[72:73], v[4:5], v[124:125], -v[8:9]
	v_mul_f64 v[4:5], v[4:5], v[126:127]
	v_fma_f64 v[74:75], v[6:7], v[124:125], v[4:5]
	v_add_f64 v[4:5], v[48:49], -v[36:37]
	v_add_f64 v[6:7], v[24:25], -v[44:45]
	s_delay_alu instid0(VALU_DEP_1) | instskip(SKIP_2) | instid1(VALU_DEP_1)
	v_add_f64 v[16:17], v[4:5], v[6:7]
	v_add_f64 v[4:5], v[50:51], -v[38:39]
	v_add_f64 v[6:7], v[26:27], -v[46:47]
	v_add_f64 v[18:19], v[4:5], v[6:7]
	ds_load_b128 v[4:7], v108
	ds_load_b128 v[8:11], v108 offset:1008
	s_waitcnt lgkmcnt(1)
	v_fma_f64 v[20:21], v[12:13], -0.5, v[4:5]
	v_add_f64 v[12:13], v[38:39], v[46:47]
	s_delay_alu instid0(VALU_DEP_1) | instskip(NEXT) | instid1(VALU_DEP_3)
	v_fma_f64 v[22:23], v[12:13], -0.5, v[6:7]
	v_fma_f64 v[12:13], v[176:177], s[12:13], v[20:21]
	v_fma_f64 v[20:21], v[176:177], s[14:15], v[20:21]
	s_delay_alu instid0(VALU_DEP_3) | instskip(SKIP_1) | instid1(VALU_DEP_4)
	v_fma_f64 v[14:15], v[180:181], s[14:15], v[22:23]
	v_fma_f64 v[22:23], v[180:181], s[12:13], v[22:23]
	v_fma_f64 v[12:13], v[178:179], s[2:3], v[12:13]
	s_delay_alu instid0(VALU_DEP_4) | instskip(NEXT) | instid1(VALU_DEP_4)
	v_fma_f64 v[20:21], v[178:179], s[10:11], v[20:21]
	v_fma_f64 v[14:15], v[182:183], s[10:11], v[14:15]
	s_delay_alu instid0(VALU_DEP_4) | instskip(NEXT) | instid1(VALU_DEP_4)
	v_fma_f64 v[22:23], v[182:183], s[2:3], v[22:23]
	v_fma_f64 v[12:13], v[16:17], s[16:17], v[12:13]
	s_delay_alu instid0(VALU_DEP_4) | instskip(SKIP_4) | instid1(VALU_DEP_4)
	v_fma_f64 v[16:17], v[16:17], s[16:17], v[20:21]
	v_add_f64 v[20:21], v[48:49], v[24:25]
	v_fma_f64 v[14:15], v[18:19], s[16:17], v[14:15]
	v_fma_f64 v[18:19], v[18:19], s[16:17], v[22:23]
	v_add_f64 v[22:23], v[50:51], v[26:27]
	v_fma_f64 v[20:21], v[20:21], -0.5, v[4:5]
	v_add_f64 v[4:5], v[4:5], v[48:49]
	v_add_f64 v[48:49], v[36:37], -v[48:49]
	s_delay_alu instid0(VALU_DEP_4) | instskip(SKIP_1) | instid1(VALU_DEP_4)
	v_fma_f64 v[22:23], v[22:23], -0.5, v[6:7]
	v_add_f64 v[6:7], v[6:7], v[50:51]
	v_add_f64 v[4:5], v[4:5], v[36:37]
	v_add_f64 v[36:37], v[38:39], -v[50:51]
	v_add_f64 v[50:51], v[42:43], -v[58:59]
	s_delay_alu instid0(VALU_DEP_4)
	v_add_f64 v[6:7], v[6:7], v[38:39]
	v_add_f64 v[38:39], v[44:45], -v[24:25]
	v_add_f64 v[4:5], v[4:5], v[44:45]
	v_fma_f64 v[44:45], v[182:183], s[12:13], v[22:23]
	v_fma_f64 v[22:23], v[182:183], s[14:15], v[22:23]
	v_add_f64 v[6:7], v[6:7], v[46:47]
	v_add_f64 v[38:39], v[48:49], v[38:39]
	;; [unrolled: 1-line block ×3, first 2 shown]
	v_add_f64 v[24:25], v[46:47], -v[26:27]
	v_fma_f64 v[44:45], v[180:181], s[10:11], v[44:45]
	v_fma_f64 v[46:47], v[180:181], s[2:3], v[22:23]
	v_add_f64 v[48:49], v[30:31], -v[66:67]
	v_add_f64 v[6:7], v[6:7], v[26:27]
	v_fma_f64 v[26:27], v[178:179], s[14:15], v[20:21]
	v_fma_f64 v[20:21], v[178:179], s[12:13], v[20:21]
	v_add_f64 v[36:37], v[36:37], v[24:25]
	v_add_f64 v[178:179], v[28:29], -v[64:65]
	s_delay_alu instid0(VALU_DEP_4) | instskip(NEXT) | instid1(VALU_DEP_4)
	v_fma_f64 v[24:25], v[176:177], s[2:3], v[26:27]
	v_fma_f64 v[26:27], v[176:177], s[10:11], v[20:21]
	s_delay_alu instid0(VALU_DEP_4) | instskip(SKIP_1) | instid1(VALU_DEP_4)
	v_fma_f64 v[22:23], v[36:37], s[16:17], v[44:45]
	v_add_f64 v[44:45], v[66:67], -v[58:59]
	v_fma_f64 v[20:21], v[38:39], s[16:17], v[24:25]
	s_delay_alu instid0(VALU_DEP_4) | instskip(SKIP_4) | instid1(VALU_DEP_2)
	v_fma_f64 v[24:25], v[38:39], s[16:17], v[26:27]
	v_fma_f64 v[26:27], v[36:37], s[16:17], v[46:47]
	v_add_f64 v[36:37], v[28:29], -v[40:41]
	v_add_f64 v[38:39], v[64:65], -v[56:57]
	v_add_f64 v[46:47], v[42:43], v[58:59]
	v_add_f64 v[36:37], v[36:37], v[38:39]
	v_add_f64 v[38:39], v[30:31], -v[42:43]
	s_waitcnt lgkmcnt(0)
	s_delay_alu instid0(VALU_DEP_3) | instskip(NEXT) | instid1(VALU_DEP_2)
	v_fma_f64 v[46:47], v[46:47], -0.5, v[10:11]
	v_add_f64 v[38:39], v[38:39], v[44:45]
	v_add_f64 v[44:45], v[40:41], v[56:57]
	s_delay_alu instid0(VALU_DEP_3) | instskip(SKIP_1) | instid1(VALU_DEP_3)
	v_fma_f64 v[180:181], v[178:179], s[14:15], v[46:47]
	v_fma_f64 v[46:47], v[178:179], s[12:13], v[46:47]
	v_fma_f64 v[44:45], v[44:45], -0.5, v[8:9]
	s_delay_alu instid0(VALU_DEP_3) | instskip(NEXT) | instid1(VALU_DEP_3)
	v_fma_f64 v[182:183], v[188:189], s[10:11], v[180:181]
	v_fma_f64 v[46:47], v[188:189], s[2:3], v[46:47]
	s_delay_alu instid0(VALU_DEP_3) | instskip(SKIP_1) | instid1(VALU_DEP_4)
	v_fma_f64 v[176:177], v[48:49], s[12:13], v[44:45]
	v_fma_f64 v[44:45], v[48:49], s[14:15], v[44:45]
	;; [unrolled: 1-line block ×3, first 2 shown]
	s_delay_alu instid0(VALU_DEP_4) | instskip(SKIP_3) | instid1(VALU_DEP_3)
	v_fma_f64 v[186:187], v[38:39], s[16:17], v[46:47]
	v_add_f64 v[38:39], v[30:31], v[66:67]
	v_fma_f64 v[176:177], v[50:51], s[2:3], v[176:177]
	v_fma_f64 v[44:45], v[50:51], s[10:11], v[44:45]
	v_fma_f64 v[38:39], v[38:39], -0.5, v[10:11]
	v_add_f64 v[10:11], v[10:11], v[30:31]
	v_add_f64 v[30:31], v[42:43], -v[30:31]
	v_fma_f64 v[180:181], v[36:37], s[16:17], v[176:177]
	v_fma_f64 v[184:185], v[36:37], s[16:17], v[44:45]
	v_add_f64 v[36:37], v[28:29], v[64:65]
	v_fma_f64 v[46:47], v[188:189], s[12:13], v[38:39]
	v_add_f64 v[10:11], v[10:11], v[42:43]
	v_add_f64 v[42:43], v[58:59], -v[66:67]
	v_fma_f64 v[38:39], v[188:189], s[14:15], v[38:39]
	v_fma_f64 v[36:37], v[36:37], -0.5, v[8:9]
	v_add_f64 v[8:9], v[8:9], v[28:29]
	v_add_f64 v[28:29], v[40:41], -v[28:29]
	v_add_f64 v[10:11], v[10:11], v[58:59]
	v_add_f64 v[30:31], v[30:31], v[42:43]
	v_fma_f64 v[42:43], v[178:179], s[10:11], v[46:47]
	v_fma_f64 v[38:39], v[178:179], s[2:3], v[38:39]
	ds_load_b128 v[176:179], v108 offset:2016
	ds_load_b128 v[196:199], v108 offset:3024
	v_add_f64 v[46:47], v[32:33], -v[109:110]
	v_fma_f64 v[44:45], v[50:51], s[14:15], v[36:37]
	v_add_f64 v[8:9], v[8:9], v[40:41]
	v_add_f64 v[40:41], v[56:57], -v[64:65]
	v_fma_f64 v[36:37], v[50:51], s[12:13], v[36:37]
	v_add_f64 v[10:11], v[10:11], v[66:67]
	v_fma_f64 v[190:191], v[30:31], s[16:17], v[42:43]
	v_fma_f64 v[194:195], v[30:31], s[16:17], v[38:39]
	v_add_f64 v[30:31], v[109:110], -v[68:69]
	v_add_f64 v[38:39], v[54:55], v[70:71]
	v_add_f64 v[42:43], v[54:55], -v[70:71]
	v_add_f64 v[8:9], v[8:9], v[56:57]
	v_add_f64 v[28:29], v[28:29], v[40:41]
	v_fma_f64 v[40:41], v[48:49], s[2:3], v[44:45]
	v_fma_f64 v[36:37], v[48:49], s[10:11], v[36:37]
	v_add_f64 v[48:49], v[52:53], -v[68:69]
	s_waitcnt lgkmcnt(1)
	v_fma_f64 v[38:39], v[38:39], -0.5, v[178:179]
	v_add_f64 v[8:9], v[8:9], v[64:65]
	v_fma_f64 v[188:189], v[28:29], s[16:17], v[40:41]
	v_fma_f64 v[192:193], v[28:29], s[16:17], v[36:37]
	v_add_f64 v[28:29], v[32:33], -v[52:53]
	v_add_f64 v[36:37], v[212:213], -v[70:71]
	;; [unrolled: 1-line block ×3, first 2 shown]
	v_fma_f64 v[50:51], v[46:47], s[14:15], v[38:39]
	v_fma_f64 v[38:39], v[46:47], s[12:13], v[38:39]
	v_add_f64 v[28:29], v[28:29], v[30:31]
	v_add_f64 v[30:31], v[34:35], -v[54:55]
	s_delay_alu instid0(VALU_DEP_4) | instskip(NEXT) | instid1(VALU_DEP_4)
	v_fma_f64 v[50:51], v[48:49], s[10:11], v[50:51]
	v_fma_f64 v[38:39], v[48:49], s[2:3], v[38:39]
	s_delay_alu instid0(VALU_DEP_3) | instskip(SKIP_1) | instid1(VALU_DEP_2)
	v_add_f64 v[30:31], v[30:31], v[36:37]
	v_add_f64 v[36:37], v[52:53], v[68:69]
	v_fma_f64 v[206:207], v[30:31], s[16:17], v[38:39]
	s_delay_alu instid0(VALU_DEP_2)
	v_fma_f64 v[36:37], v[36:37], -0.5, v[176:177]
	v_add_f64 v[38:39], v[178:179], v[34:35]
	v_fma_f64 v[202:203], v[30:31], s[16:17], v[50:51]
	v_add_f64 v[30:31], v[34:35], v[212:213]
	v_add_f64 v[34:35], v[54:55], -v[34:35]
	v_fma_f64 v[44:45], v[40:41], s[12:13], v[36:37]
	v_fma_f64 v[36:37], v[40:41], s[14:15], v[36:37]
	v_add_f64 v[38:39], v[38:39], v[54:55]
	v_fma_f64 v[30:31], v[30:31], -0.5, v[178:179]
	s_delay_alu instid0(VALU_DEP_4) | instskip(NEXT) | instid1(VALU_DEP_4)
	v_fma_f64 v[44:45], v[42:43], s[2:3], v[44:45]
	v_fma_f64 v[36:37], v[42:43], s[10:11], v[36:37]
	s_delay_alu instid0(VALU_DEP_4) | instskip(NEXT) | instid1(VALU_DEP_3)
	v_add_f64 v[38:39], v[38:39], v[70:71]
	v_fma_f64 v[200:201], v[28:29], s[16:17], v[44:45]
	s_delay_alu instid0(VALU_DEP_3)
	v_fma_f64 v[204:205], v[28:29], s[16:17], v[36:37]
	v_add_f64 v[36:37], v[176:177], v[32:33]
	v_add_f64 v[28:29], v[32:33], v[109:110]
	v_add_f64 v[32:33], v[52:53], -v[32:33]
	v_add_f64 v[44:45], v[68:69], -v[109:110]
	v_add_f64 v[210:211], v[38:39], v[212:213]
	v_add_f64 v[36:37], v[36:37], v[52:53]
	v_fma_f64 v[28:29], v[28:29], -0.5, v[176:177]
	s_delay_alu instid0(VALU_DEP_4) | instskip(SKIP_1) | instid1(VALU_DEP_4)
	v_add_f64 v[32:33], v[32:33], v[44:45]
	v_add_f64 v[44:45], v[232:233], -v[236:237]
	v_add_f64 v[36:37], v[36:37], v[68:69]
	s_delay_alu instid0(VALU_DEP_4)
	v_fma_f64 v[38:39], v[42:43], s[14:15], v[28:29]
	v_fma_f64 v[28:29], v[42:43], s[12:13], v[28:29]
	;; [unrolled: 1-line block ×4, first 2 shown]
	v_add_f64 v[48:49], v[236:237], -v[240:241]
	v_add_f64 v[208:209], v[36:37], v[109:110]
	v_add_f64 v[36:37], v[70:71], -v[212:213]
	v_fma_f64 v[28:29], v[40:41], s[10:11], v[28:29]
	v_fma_f64 v[30:31], v[46:47], s[2:3], v[30:31]
	s_delay_alu instid0(VALU_DEP_3) | instskip(SKIP_1) | instid1(VALU_DEP_4)
	v_add_f64 v[34:35], v[34:35], v[36:37]
	v_fma_f64 v[36:37], v[40:41], s[2:3], v[38:39]
	v_fma_f64 v[216:217], v[32:33], s[16:17], v[28:29]
	v_add_f64 v[28:29], v[228:229], -v[232:233]
	v_fma_f64 v[38:39], v[46:47], s[10:11], v[42:43]
	v_add_f64 v[42:43], v[228:229], -v[240:241]
	;; [unrolled: 2-line block ×4, first 2 shown]
	v_fma_f64 v[214:215], v[34:35], s[16:17], v[38:39]
	v_add_f64 v[34:35], v[234:235], v[238:239]
	v_add_f64 v[36:37], v[230:231], -v[242:243]
	v_add_f64 v[38:39], v[234:235], -v[238:239]
	v_add_f64 v[28:29], v[28:29], v[30:31]
	v_add_f64 v[30:31], v[230:231], -v[234:235]
	s_waitcnt lgkmcnt(0)
	v_fma_f64 v[34:35], v[34:35], -0.5, v[198:199]
	s_delay_alu instid0(VALU_DEP_2) | instskip(SKIP_1) | instid1(VALU_DEP_3)
	v_add_f64 v[30:31], v[30:31], v[32:33]
	v_add_f64 v[32:33], v[232:233], v[236:237]
	v_fma_f64 v[46:47], v[42:43], s[14:15], v[34:35]
	v_fma_f64 v[34:35], v[42:43], s[12:13], v[34:35]
	s_delay_alu instid0(VALU_DEP_3) | instskip(NEXT) | instid1(VALU_DEP_3)
	v_fma_f64 v[32:33], v[32:33], -0.5, v[196:197]
	v_fma_f64 v[46:47], v[44:45], s[10:11], v[46:47]
	s_delay_alu instid0(VALU_DEP_3) | instskip(NEXT) | instid1(VALU_DEP_3)
	v_fma_f64 v[34:35], v[44:45], s[2:3], v[34:35]
	v_fma_f64 v[40:41], v[36:37], s[12:13], v[32:33]
	;; [unrolled: 1-line block ×3, first 2 shown]
	s_delay_alu instid0(VALU_DEP_4) | instskip(NEXT) | instid1(VALU_DEP_4)
	v_fma_f64 v[222:223], v[30:31], s[16:17], v[46:47]
	v_fma_f64 v[226:227], v[30:31], s[16:17], v[34:35]
	v_add_f64 v[34:35], v[198:199], v[230:231]
	v_add_f64 v[30:31], v[230:231], v[242:243]
	v_add_f64 v[46:47], v[234:235], -v[230:231]
	v_fma_f64 v[40:41], v[38:39], s[2:3], v[40:41]
	v_fma_f64 v[32:33], v[38:39], s[10:11], v[32:33]
	v_add_f64 v[34:35], v[34:35], v[234:235]
	v_fma_f64 v[30:31], v[30:31], -0.5, v[198:199]
	s_delay_alu instid0(VALU_DEP_4) | instskip(NEXT) | instid1(VALU_DEP_4)
	v_fma_f64 v[220:221], v[28:29], s[16:17], v[40:41]
	v_fma_f64 v[224:225], v[28:29], s[16:17], v[32:33]
	v_add_f64 v[32:33], v[196:197], v[228:229]
	v_add_f64 v[28:29], v[228:229], v[240:241]
	v_add_f64 v[34:35], v[34:35], v[238:239]
	v_add_f64 v[40:41], v[232:233], -v[228:229]
	s_delay_alu instid0(VALU_DEP_4) | instskip(NEXT) | instid1(VALU_DEP_4)
	v_add_f64 v[32:33], v[32:33], v[232:233]
	v_fma_f64 v[28:29], v[28:29], -0.5, v[196:197]
	s_delay_alu instid0(VALU_DEP_4) | instskip(NEXT) | instid1(VALU_DEP_4)
	v_add_f64 v[198:199], v[34:35], v[242:243]
	v_add_f64 v[40:41], v[40:41], v[48:49]
	s_delay_alu instid0(VALU_DEP_4) | instskip(NEXT) | instid1(VALU_DEP_4)
	v_add_f64 v[32:33], v[32:33], v[236:237]
	v_fma_f64 v[34:35], v[38:39], s[14:15], v[28:29]
	v_fma_f64 v[28:29], v[38:39], s[12:13], v[28:29]
	;; [unrolled: 1-line block ×4, first 2 shown]
	v_add_f64 v[44:45], v[244:245], -v[72:73]
	v_add_f64 v[196:197], v[32:33], v[240:241]
	v_add_f64 v[32:33], v[238:239], -v[242:243]
	v_fma_f64 v[28:29], v[36:37], s[10:11], v[28:29]
	v_fma_f64 v[34:35], v[36:37], s[2:3], v[34:35]
	v_fma_f64 v[30:31], v[42:43], s[2:3], v[30:31]
	v_fma_f64 v[36:37], v[42:43], s[10:11], v[38:39]
	v_add_f64 v[42:43], v[248:249], -v[252:253]
	v_add_f64 v[38:39], v[246:247], -v[74:75]
	v_add_f64 v[32:33], v[46:47], v[32:33]
	v_fma_f64 v[232:233], v[40:41], s[16:17], v[28:29]
	v_add_f64 v[28:29], v[248:249], -v[244:245]
	v_fma_f64 v[228:229], v[40:41], s[16:17], v[34:35]
	v_add_f64 v[34:35], v[246:247], v[74:75]
	v_fma_f64 v[234:235], v[32:33], s[16:17], v[30:31]
	v_add_f64 v[30:31], v[252:253], -v[72:73]
	v_fma_f64 v[230:231], v[32:33], s[16:17], v[36:37]
	v_add_f64 v[32:33], v[254:255], -v[74:75]
	v_fma_f64 v[34:35], v[34:35], -0.5, v[2:3]
	v_add_f64 v[36:37], v[250:251], -v[254:255]
	v_add_f64 v[28:29], v[28:29], v[30:31]
	v_add_f64 v[30:31], v[250:251], -v[246:247]
	s_delay_alu instid0(VALU_DEP_4) | instskip(SKIP_1) | instid1(VALU_DEP_3)
	v_fma_f64 v[46:47], v[42:43], s[12:13], v[34:35]
	v_fma_f64 v[34:35], v[42:43], s[14:15], v[34:35]
	v_add_f64 v[30:31], v[30:31], v[32:33]
	v_add_f64 v[32:33], v[244:245], v[72:73]
	s_delay_alu instid0(VALU_DEP_4) | instskip(NEXT) | instid1(VALU_DEP_4)
	v_fma_f64 v[46:47], v[44:45], s[10:11], v[46:47]
	v_fma_f64 v[34:35], v[44:45], s[2:3], v[34:35]
	s_delay_alu instid0(VALU_DEP_3) | instskip(NEXT) | instid1(VALU_DEP_3)
	v_fma_f64 v[32:33], v[32:33], -0.5, v[0:1]
	v_fma_f64 v[238:239], v[30:31], s[16:17], v[46:47]
	s_delay_alu instid0(VALU_DEP_3)
	v_fma_f64 v[242:243], v[30:31], s[16:17], v[34:35]
	v_add_f64 v[30:31], v[250:251], v[254:255]
	v_add_f64 v[34:35], v[246:247], -v[250:251]
	v_add_f64 v[46:47], v[74:75], -v[254:255]
	v_fma_f64 v[40:41], v[36:37], s[14:15], v[32:33]
	v_fma_f64 v[32:33], v[36:37], s[12:13], v[32:33]
	v_fma_f64 v[30:31], v[30:31], -0.5, v[2:3]
	v_add_f64 v[2:3], v[2:3], v[246:247]
	v_add_f64 v[34:35], v[34:35], v[46:47]
	v_fma_f64 v[40:41], v[38:39], s[2:3], v[40:41]
	v_fma_f64 v[32:33], v[38:39], s[10:11], v[32:33]
	s_delay_alu instid0(VALU_DEP_4) | instskip(NEXT) | instid1(VALU_DEP_3)
	v_add_f64 v[2:3], v[2:3], v[250:251]
	v_fma_f64 v[236:237], v[28:29], s[16:17], v[40:41]
	s_delay_alu instid0(VALU_DEP_3) | instskip(SKIP_4) | instid1(VALU_DEP_4)
	v_fma_f64 v[240:241], v[28:29], s[16:17], v[32:33]
	v_add_f64 v[28:29], v[248:249], v[252:253]
	v_add_f64 v[32:33], v[244:245], -v[248:249]
	v_add_f64 v[40:41], v[72:73], -v[252:253]
	v_add_f64 v[2:3], v[2:3], v[254:255]
	v_fma_f64 v[28:29], v[28:29], -0.5, v[0:1]
	v_add_f64 v[0:1], v[0:1], v[244:245]
	s_delay_alu instid0(VALU_DEP_4) | instskip(NEXT) | instid1(VALU_DEP_4)
	v_add_f64 v[32:33], v[32:33], v[40:41]
	v_add_f64 v[2:3], v[2:3], v[74:75]
	s_delay_alu instid0(VALU_DEP_4) | instskip(NEXT) | instid1(VALU_DEP_4)
	v_fma_f64 v[48:49], v[38:39], s[12:13], v[28:29]
	v_add_f64 v[0:1], v[0:1], v[248:249]
	v_fma_f64 v[28:29], v[38:39], s[14:15], v[28:29]
	v_fma_f64 v[38:39], v[44:45], s[14:15], v[30:31]
	;; [unrolled: 1-line block ×4, first 2 shown]
	v_add_f64 v[0:1], v[0:1], v[252:253]
	v_fma_f64 v[28:29], v[36:37], s[10:11], v[28:29]
	v_fma_f64 v[36:37], v[42:43], s[10:11], v[38:39]
	;; [unrolled: 1-line block ×4, first 2 shown]
	v_add_f64 v[0:1], v[0:1], v[72:73]
	ds_store_b128 v108, v[4:7]
	ds_store_b128 v108, v[8:11] offset:1008
	ds_store_b128 v108, v[208:211] offset:2016
	;; [unrolled: 1-line block ×17, first 2 shown]
	v_fma_f64 v[246:247], v[34:35], s[16:17], v[36:37]
	scratch_load_b32 v36, off, off offset:4 ; 4-byte Folded Reload
	v_fma_f64 v[176:177], v[32:33], s[16:17], v[28:29]
	v_fma_f64 v[178:179], v[34:35], s[16:17], v[30:31]
	ds_store_b128 v108, v[220:223] offset:8064
	ds_store_b128 v108, v[244:247] offset:9072
	;; [unrolled: 1-line block ×7, first 2 shown]
	s_waitcnt vmcnt(0) lgkmcnt(0)
	s_waitcnt_vscnt null, 0x0
	s_barrier
	buffer_gl0_inv
	ds_load_b128 v[16:19], v108 offset:8400
	ds_load_b128 v[24:27], v108 offset:9408
	;; [unrolled: 1-line block ×4, first 2 shown]
	v_add_co_u32 v0, s1, 0x6000, v36
	s_delay_alu instid0(VALU_DEP_1) | instskip(SKIP_1) | instid1(VALU_DEP_1)
	v_add_co_ci_u32_e64 v1, s1, 0, v111, s1
	v_add_co_u32 v34, s1, 0x7000, v36
	v_add_co_ci_u32_e64 v35, s1, 0, v111, s1
	global_load_b128 v[180:183], v[0:1], off offset:624
	v_add_co_u32 v28, s1, 0x8000, v36
	s_delay_alu instid0(VALU_DEP_1)
	v_add_co_ci_u32_e64 v29, s1, 0, v111, s1
	scratch_store_b64 off, v[0:1], off offset:1384 ; 8-byte Folded Spill
	s_clause 0x1
	global_load_b128 v[8:11], v[34:35], off offset:3584
	global_load_b128 v[20:23], v[28:29], off offset:1840
	ds_load_b128 v[0:3], v108
	s_waitcnt vmcnt(2) lgkmcnt(0)
	v_mul_f64 v[12:13], v[2:3], v[182:183]
	v_mul_f64 v[14:15], v[0:1], v[182:183]
	s_delay_alu instid0(VALU_DEP_2) | instskip(NEXT) | instid1(VALU_DEP_2)
	v_fma_f64 v[12:13], v[0:1], v[180:181], -v[12:13]
	v_fma_f64 v[14:15], v[2:3], v[180:181], v[14:15]
	global_load_b128 v[0:3], v[28:29], off offset:832
	ds_load_b128 v[180:183], v108 offset:16800
	s_waitcnt vmcnt(0)
	v_mul_f64 v[30:31], v[18:19], v[2:3]
	v_mul_f64 v[2:3], v[16:17], v[2:3]
	s_delay_alu instid0(VALU_DEP_2) | instskip(SKIP_1) | instid1(VALU_DEP_1)
	v_fma_f64 v[16:17], v[16:17], v[0:1], -v[30:31]
	v_add_co_u32 v30, s1, 0xa000, v36
	v_add_co_ci_u32_e64 v31, s1, 0, v111, s1
	s_delay_alu instid0(VALU_DEP_4)
	v_fma_f64 v[18:19], v[18:19], v[0:1], v[2:3]
	s_clause 0x1
	global_load_b128 v[0:3], v[30:31], off offset:1040
	global_load_b128 v[184:187], v[30:31], off offset:2048
	s_waitcnt vmcnt(1) lgkmcnt(0)
	v_mul_f64 v[32:33], v[182:183], v[2:3]
	v_mul_f64 v[2:3], v[180:181], v[2:3]
	s_delay_alu instid0(VALU_DEP_2) | instskip(NEXT) | instid1(VALU_DEP_2)
	v_fma_f64 v[180:181], v[180:181], v[0:1], -v[32:33]
	v_fma_f64 v[182:183], v[182:183], v[0:1], v[2:3]
	v_add_co_u32 v0, s1, 0x6270, v36
	s_delay_alu instid0(VALU_DEP_1)
	v_add_co_ci_u32_e64 v1, s1, 0, v111, s1
	s_clause 0x1
	global_load_b128 v[192:195], v[0:1], off offset:1008
	global_load_b128 v[196:199], v[0:1], off offset:2016
	s_waitcnt vmcnt(1)
	v_mul_f64 v[2:3], v[6:7], v[194:195]
	v_mul_f64 v[32:33], v[4:5], v[194:195]
	s_delay_alu instid0(VALU_DEP_2) | instskip(NEXT) | instid1(VALU_DEP_2)
	v_fma_f64 v[2:3], v[4:5], v[192:193], -v[2:3]
	v_fma_f64 v[4:5], v[6:7], v[192:193], v[32:33]
	v_mul_f64 v[6:7], v[26:27], v[22:23]
	v_mul_f64 v[32:33], v[24:25], v[22:23]
	s_delay_alu instid0(VALU_DEP_2) | instskip(NEXT) | instid1(VALU_DEP_2)
	v_fma_f64 v[22:23], v[24:25], v[20:21], -v[6:7]
	v_fma_f64 v[24:25], v[26:27], v[20:21], v[32:33]
	;; [unrolled: 5-line block ×3, first 2 shown]
	ds_load_b128 v[190:193], v108 offset:2016
	ds_load_b128 v[200:203], v108 offset:3024
	s_waitcnt vmcnt(0) lgkmcnt(1)
	v_mul_f64 v[6:7], v[192:193], v[198:199]
	v_mul_f64 v[20:21], v[190:191], v[198:199]
	s_delay_alu instid0(VALU_DEP_2) | instskip(NEXT) | instid1(VALU_DEP_2)
	v_fma_f64 v[190:191], v[190:191], v[196:197], -v[6:7]
	v_fma_f64 v[192:193], v[192:193], v[196:197], v[20:21]
	s_clause 0x1
	global_load_b128 v[194:197], v[28:29], off offset:2848
	global_load_b128 v[204:207], v[28:29], off offset:3856
	ds_load_b128 v[208:211], v108 offset:10416
	ds_load_b128 v[212:215], v108 offset:11424
	s_waitcnt vmcnt(1) lgkmcnt(1)
	v_mul_f64 v[6:7], v[210:211], v[196:197]
	v_mul_f64 v[20:21], v[208:209], v[196:197]
	s_delay_alu instid0(VALU_DEP_2) | instskip(NEXT) | instid1(VALU_DEP_2)
	v_fma_f64 v[196:197], v[208:209], v[194:195], -v[6:7]
	v_fma_f64 v[198:199], v[210:211], v[194:195], v[20:21]
	s_clause 0x1
	global_load_b128 v[208:211], v[30:31], off offset:3056
	global_load_b128 v[216:219], v[30:31], off offset:4064
	ds_load_b128 v[220:223], v108 offset:18816
	ds_load_b128 v[224:227], v108 offset:19824
	s_waitcnt vmcnt(1) lgkmcnt(1)
	v_mul_f64 v[6:7], v[222:223], v[210:211]
	v_mul_f64 v[20:21], v[220:221], v[210:211]
	s_delay_alu instid0(VALU_DEP_2) | instskip(NEXT) | instid1(VALU_DEP_2)
	v_fma_f64 v[220:221], v[220:221], v[208:209], -v[6:7]
	v_fma_f64 v[222:223], v[222:223], v[208:209], v[20:21]
	s_clause 0x1
	global_load_b128 v[208:211], v[0:1], off offset:3024
	global_load_b128 v[228:231], v[0:1], off offset:4032
	s_waitcnt vmcnt(1)
	v_mul_f64 v[6:7], v[202:203], v[210:211]
	v_mul_f64 v[20:21], v[200:201], v[210:211]
	s_delay_alu instid0(VALU_DEP_2) | instskip(NEXT) | instid1(VALU_DEP_2)
	v_fma_f64 v[200:201], v[200:201], v[208:209], -v[6:7]
	v_fma_f64 v[202:203], v[202:203], v[208:209], v[20:21]
	v_mul_f64 v[6:7], v[214:215], v[206:207]
	v_mul_f64 v[20:21], v[212:213], v[206:207]
	s_delay_alu instid0(VALU_DEP_2) | instskip(NEXT) | instid1(VALU_DEP_2)
	v_fma_f64 v[206:207], v[212:213], v[204:205], -v[6:7]
	v_fma_f64 v[208:209], v[214:215], v[204:205], v[20:21]
	s_waitcnt lgkmcnt(0)
	v_mul_f64 v[6:7], v[226:227], v[218:219]
	v_mul_f64 v[20:21], v[224:225], v[218:219]
	s_delay_alu instid0(VALU_DEP_2) | instskip(NEXT) | instid1(VALU_DEP_2)
	v_fma_f64 v[210:211], v[224:225], v[216:217], -v[6:7]
	v_fma_f64 v[212:213], v[226:227], v[216:217], v[20:21]
	ds_load_b128 v[214:217], v108 offset:4032
	ds_load_b128 v[224:227], v108 offset:5040
	;; [unrolled: 1-line block ×5, first 2 shown]
	s_waitcnt vmcnt(0) lgkmcnt(4)
	v_mul_f64 v[6:7], v[216:217], v[230:231]
	v_mul_f64 v[20:21], v[214:215], v[230:231]
	s_delay_alu instid0(VALU_DEP_2) | instskip(SKIP_1) | instid1(VALU_DEP_1)
	v_fma_f64 v[214:215], v[214:215], v[228:229], -v[6:7]
	v_add_co_u32 v6, s1, 0x9000, v36
	v_add_co_ci_u32_e64 v7, s1, 0, v111, s1
	s_delay_alu instid0(VALU_DEP_4)
	v_fma_f64 v[216:217], v[216:217], v[228:229], v[20:21]
	s_clause 0x1
	global_load_b128 v[228:231], v[6:7], off offset:768
	global_load_b128 v[236:239], v[6:7], off offset:1776
	s_waitcnt vmcnt(1) lgkmcnt(2)
	v_mul_f64 v[20:21], v[234:235], v[230:231]
	v_mul_f64 v[26:27], v[232:233], v[230:231]
	s_delay_alu instid0(VALU_DEP_2) | instskip(SKIP_1) | instid1(VALU_DEP_1)
	v_fma_f64 v[230:231], v[232:233], v[228:229], -v[20:21]
	v_add_co_u32 v20, s1, 0xb000, v36
	v_add_co_ci_u32_e64 v21, s1, 0, v111, s1
	s_delay_alu instid0(VALU_DEP_4)
	v_fma_f64 v[232:233], v[234:235], v[228:229], v[26:27]
	ds_load_b128 v[26:29], v108 offset:21840
	s_clause 0x1
	global_load_b128 v[244:247], v[20:21], off offset:976
	global_load_b128 v[252:255], v[20:21], off offset:1984
	s_waitcnt vmcnt(1) lgkmcnt(1)
	v_mul_f64 v[30:31], v[250:251], v[246:247]
	v_mul_f64 v[32:33], v[248:249], v[246:247]
	s_waitcnt vmcnt(0) lgkmcnt(0)
	v_mul_f64 v[40:41], v[26:27], v[254:255]
	s_delay_alu instid0(VALU_DEP_3) | instskip(NEXT) | instid1(VALU_DEP_3)
	v_fma_f64 v[246:247], v[248:249], v[244:245], -v[30:31]
	v_fma_f64 v[248:249], v[250:251], v[244:245], v[32:33]
	s_clause 0x1
	global_load_b128 v[30:33], v[34:35], off offset:1568
	global_load_b128 v[34:37], v[34:35], off offset:2576
	s_waitcnt vmcnt(1)
	v_mul_f64 v[38:39], v[226:227], v[32:33]
	v_mul_f64 v[32:33], v[224:225], v[32:33]
	s_delay_alu instid0(VALU_DEP_2) | instskip(NEXT) | instid1(VALU_DEP_2)
	v_fma_f64 v[224:225], v[224:225], v[30:31], -v[38:39]
	v_fma_f64 v[226:227], v[226:227], v[30:31], v[32:33]
	v_mul_f64 v[30:31], v[242:243], v[238:239]
	v_mul_f64 v[32:33], v[240:241], v[238:239]
	;; [unrolled: 1-line block ×3, first 2 shown]
	v_fma_f64 v[28:29], v[28:29], v[252:253], v[40:41]
	s_delay_alu instid0(VALU_DEP_4) | instskip(NEXT) | instid1(VALU_DEP_4)
	v_fma_f64 v[30:31], v[240:241], v[236:237], -v[30:31]
	v_fma_f64 v[32:33], v[242:243], v[236:237], v[32:33]
	ds_load_b128 v[234:237], v108 offset:6048
	ds_load_b128 v[238:241], v108 offset:7056
	v_fma_f64 v[26:27], v[26:27], v[252:253], -v[38:39]
	s_waitcnt vmcnt(0) lgkmcnt(1)
	v_mul_f64 v[38:39], v[236:237], v[36:37]
	v_mul_f64 v[40:41], v[234:235], v[36:37]
	s_delay_alu instid0(VALU_DEP_2) | instskip(NEXT) | instid1(VALU_DEP_2)
	v_fma_f64 v[36:37], v[234:235], v[34:35], -v[38:39]
	v_fma_f64 v[38:39], v[236:237], v[34:35], v[40:41]
	s_clause 0x1
	global_load_b128 v[234:237], v[6:7], off offset:2784
	global_load_b128 v[242:245], v[6:7], off offset:3792
	ds_load_b128 v[250:253], v108 offset:14448
	ds_load_b128 v[40:43], v108 offset:15456
	s_waitcnt vmcnt(1) lgkmcnt(1)
	v_mul_f64 v[6:7], v[252:253], v[236:237]
	v_mul_f64 v[34:35], v[250:251], v[236:237]
	s_delay_alu instid0(VALU_DEP_2) | instskip(NEXT) | instid1(VALU_DEP_2)
	v_fma_f64 v[250:251], v[250:251], v[234:235], -v[6:7]
	v_fma_f64 v[252:253], v[252:253], v[234:235], v[34:35]
	s_clause 0x1
	global_load_b128 v[234:237], v[20:21], off offset:2992
	global_load_b128 v[44:47], v[20:21], off offset:4000
	ds_load_b128 v[48:51], v108 offset:22848
	ds_load_b128 v[52:55], v108 offset:23856
	s_waitcnt vmcnt(1) lgkmcnt(1)
	v_mul_f64 v[6:7], v[50:51], v[236:237]
	v_mul_f64 v[20:21], v[48:49], v[236:237]
	s_delay_alu instid0(VALU_DEP_2) | instskip(SKIP_2) | instid1(VALU_DEP_4)
	v_fma_f64 v[48:49], v[48:49], v[234:235], -v[6:7]
	v_mul_f64 v[6:7], v[240:241], v[10:11]
	v_mul_f64 v[10:11], v[238:239], v[10:11]
	v_fma_f64 v[50:51], v[50:51], v[234:235], v[20:21]
	v_mul_f64 v[20:21], v[40:41], v[244:245]
	s_delay_alu instid0(VALU_DEP_4) | instskip(NEXT) | instid1(VALU_DEP_4)
	v_fma_f64 v[6:7], v[238:239], v[8:9], -v[6:7]
	v_fma_f64 v[8:9], v[240:241], v[8:9], v[10:11]
	v_mul_f64 v[10:11], v[42:43], v[244:245]
	s_delay_alu instid0(VALU_DEP_4) | instskip(SKIP_2) | instid1(VALU_DEP_3)
	v_fma_f64 v[42:43], v[42:43], v[242:243], v[20:21]
	s_waitcnt vmcnt(0) lgkmcnt(0)
	v_mul_f64 v[20:21], v[52:53], v[46:47]
	v_fma_f64 v[40:41], v[40:41], v[242:243], -v[10:11]
	v_mul_f64 v[10:11], v[54:55], v[46:47]
	s_delay_alu instid0(VALU_DEP_3) | instskip(NEXT) | instid1(VALU_DEP_2)
	v_fma_f64 v[54:55], v[54:55], v[44:45], v[20:21]
	v_fma_f64 v[52:53], v[52:53], v[44:45], -v[10:11]
	ds_store_b128 v108, v[12:15]
	ds_store_b128 v108, v[2:5] offset:1008
	ds_store_b128 v108, v[16:19] offset:8400
	;; [unrolled: 1-line block ×23, first 2 shown]
	s_and_saveexec_b32 s2, vcc_lo
	s_cbranch_execz .LBB0_17
; %bb.16:
	v_add_co_u32 v2, s1, 0x1000, v0
	s_delay_alu instid0(VALU_DEP_1) | instskip(SKIP_1) | instid1(VALU_DEP_1)
	v_add_co_ci_u32_e64 v3, s1, 0, v1, s1
	v_add_co_u32 v4, s1, 0x4000, v0
	v_add_co_ci_u32_e64 v5, s1, 0, v1, s1
	v_add_co_u32 v8, s1, 0x6000, v0
	s_delay_alu instid0(VALU_DEP_1)
	v_add_co_ci_u32_e64 v9, s1, 0, v1, s1
	s_clause 0x2
	global_load_b128 v[0:3], v[2:3], off offset:3968
	global_load_b128 v[4:7], v[4:5], off offset:80
	;; [unrolled: 1-line block ×3, first 2 shown]
	ds_load_b128 v[12:15], v108 offset:8064
	ds_load_b128 v[16:19], v108 offset:16464
	ds_load_b128 v[20:23], v108 offset:24864
	s_waitcnt vmcnt(2) lgkmcnt(2)
	v_mul_f64 v[24:25], v[14:15], v[2:3]
	v_mul_f64 v[2:3], v[12:13], v[2:3]
	s_waitcnt vmcnt(1) lgkmcnt(1)
	v_mul_f64 v[26:27], v[18:19], v[6:7]
	v_mul_f64 v[6:7], v[16:17], v[6:7]
	;; [unrolled: 3-line block ×3, first 2 shown]
	v_fma_f64 v[10:11], v[12:13], v[0:1], -v[24:25]
	v_fma_f64 v[12:13], v[14:15], v[0:1], v[2:3]
	v_fma_f64 v[0:1], v[16:17], v[4:5], -v[26:27]
	v_fma_f64 v[2:3], v[18:19], v[4:5], v[6:7]
	v_fma_f64 v[4:5], v[20:21], v[8:9], -v[28:29]
	v_fma_f64 v[6:7], v[22:23], v[8:9], v[30:31]
	ds_store_b128 v108, v[10:13] offset:8064
	ds_store_b128 v108, v[0:3] offset:16464
	;; [unrolled: 1-line block ×3, first 2 shown]
.LBB0_17:
	s_or_b32 exec_lo, exec_lo, s2
	s_waitcnt lgkmcnt(0)
	s_waitcnt_vscnt null, 0x0
	s_barrier
	buffer_gl0_inv
	ds_load_b128 v[180:183], v108
	ds_load_b128 v[184:187], v108 offset:1008
	ds_load_b128 v[16:19], v108 offset:8400
	;; [unrolled: 1-line block ×23, first 2 shown]
	s_and_saveexec_b32 s1, vcc_lo
	s_cbranch_execz .LBB0_19
; %bb.18:
	ds_load_b128 v[176:179], v108 offset:8064
	ds_load_b128 v[168:171], v108 offset:16464
	;; [unrolled: 1-line block ×3, first 2 shown]
.LBB0_19:
	s_or_b32 exec_lo, exec_lo, s1
	s_waitcnt lgkmcnt(21)
	v_add_f64 v[20:21], v[180:181], v[16:17]
	v_add_f64 v[22:23], v[182:183], v[18:19]
	s_waitcnt lgkmcnt(19)
	v_add_f64 v[34:35], v[18:19], v[14:15]
	v_add_f64 v[36:37], v[18:19], -v[14:15]
	v_add_f64 v[18:19], v[186:187], v[10:11]
	v_add_f64 v[32:33], v[16:17], v[12:13]
	v_add_f64 v[38:39], v[16:17], -v[12:13]
	v_add_f64 v[16:17], v[184:185], v[8:9]
	s_waitcnt lgkmcnt(18)
	v_add_f64 v[40:41], v[8:9], v[4:5]
	v_add_f64 v[42:43], v[10:11], v[6:7]
	v_add_f64 v[44:45], v[10:11], -v[6:7]
	v_add_f64 v[46:47], v[8:9], -v[4:5]
	s_waitcnt lgkmcnt(15)
	v_add_f64 v[8:9], v[188:189], v[0:1]
	s_waitcnt lgkmcnt(3)
	v_add_f64 v[24:25], v[204:205], v[224:225]
	;; [unrolled: 2-line block ×3, first 2 shown]
	v_add_f64 v[48:49], v[0:1], v[252:253]
	v_add_f64 v[54:55], v[0:1], -v[252:253]
	v_add_f64 v[56:57], v[248:249], v[244:245]
	v_add_f64 v[70:71], v[242:243], v[238:239]
	v_add_f64 v[72:73], v[242:243], -v[238:239]
	v_add_f64 v[109:110], v[232:233], v[228:229]
	v_add_f64 v[64:65], v[250:251], -v[246:247]
	v_add_f64 v[66:67], v[248:249], -v[244:245]
	s_mov_b32 s2, 0xe8584caa
	s_mov_b32 s3, 0xbfebb67a
	;; [unrolled: 1-line block ×4, first 2 shown]
	s_waitcnt lgkmcnt(0)
	s_barrier
	buffer_gl0_inv
	v_add_f64 v[26:27], v[206:207], v[226:227]
	v_add_f64 v[30:31], v[210:211], v[218:219]
	;; [unrolled: 1-line block ×3, first 2 shown]
	v_add_f64 v[74:75], v[240:241], -v[236:237]
	v_add_f64 v[50:51], v[2:3], v[254:255]
	v_add_f64 v[10:11], v[190:191], v[2:3]
	v_add_f64 v[52:53], v[2:3], -v[254:255]
	v_add_f64 v[58:59], v[250:251], v[246:247]
	v_add_f64 v[12:13], v[20:21], v[12:13]
	;; [unrolled: 1-line block ×3, first 2 shown]
	v_add_f64 v[232:233], v[232:233], -v[228:229]
	v_add_f64 v[14:15], v[22:23], v[14:15]
	v_add_f64 v[6:7], v[18:19], v[6:7]
	v_add_f64 v[18:19], v[198:199], v[242:243]
	v_add_f64 v[22:23], v[202:203], v[234:235]
	v_add_f64 v[4:5], v[16:17], v[4:5]
	v_add_f64 v[16:17], v[196:197], v[240:241]
	v_add_f64 v[240:241], v[170:171], v[174:175]
	v_add_f64 v[242:243], v[170:171], -v[174:175]
	v_add_f64 v[0:1], v[8:9], v[252:253]
	v_add_f64 v[8:9], v[192:193], v[248:249]
	;; [unrolled: 1-line block ×4, first 2 shown]
	v_fma_f64 v[56:57], v[56:57], -0.5, v[192:193]
	v_fma_f64 v[70:71], v[70:71], -0.5, v[198:199]
	;; [unrolled: 1-line block ×3, first 2 shown]
	v_add_f64 v[26:27], v[26:27], v[222:223]
	v_add_f64 v[30:31], v[30:31], v[214:215]
	v_fma_f64 v[68:69], v[68:69], -0.5, v[196:197]
	v_add_f64 v[2:3], v[10:11], v[254:255]
	v_add_f64 v[10:11], v[194:195], v[250:251]
	v_fma_f64 v[58:59], v[58:59], -0.5, v[194:195]
	v_add_f64 v[20:21], v[20:21], v[228:229]
	v_add_f64 v[228:229], v[224:225], v[220:221]
	v_add_f64 v[224:225], v[224:225], -v[220:221]
	v_add_f64 v[220:221], v[216:217], v[212:213]
	v_add_f64 v[18:19], v[18:19], v[238:239]
	v_add_f64 v[238:239], v[216:217], -v[212:213]
	v_add_f64 v[212:213], v[176:177], v[168:169]
	v_add_f64 v[216:217], v[168:169], v[172:173]
	;; [unrolled: 1-line block ×4, first 2 shown]
	v_add_f64 v[234:235], v[234:235], -v[230:231]
	v_add_f64 v[22:23], v[22:23], v[230:231]
	v_add_f64 v[8:9], v[8:9], v[244:245]
	v_add_f64 v[244:245], v[168:169], -v[172:173]
	v_add_f64 v[230:231], v[226:227], v[222:223]
	v_add_f64 v[226:227], v[226:227], -v[222:223]
	;; [unrolled: 2-line block ×3, first 2 shown]
	v_add_f64 v[214:215], v[178:179], v[170:171]
	v_add_f64 v[10:11], v[10:11], v[246:247]
	v_fma_f64 v[198:199], v[228:229], -0.5, v[204:205]
	v_fma_f64 v[204:205], v[220:221], -0.5, v[208:209]
	v_add_f64 v[168:169], v[212:213], v[172:173]
	v_fma_f64 v[172:173], v[32:33], -0.5, v[180:181]
	v_fma_f64 v[208:209], v[216:217], -0.5, v[176:177]
	v_fma_f64 v[176:177], v[64:65], s[10:11], v[56:57]
	v_fma_f64 v[180:181], v[40:41], -0.5, v[184:185]
	v_fma_f64 v[184:185], v[48:49], -0.5, v[188:189]
	;; [unrolled: 1-line block ×3, first 2 shown]
	v_fma_f64 v[188:189], v[234:235], s[2:3], v[109:110]
	v_fma_f64 v[202:203], v[230:231], -0.5, v[206:207]
	v_fma_f64 v[192:193], v[234:235], s[10:11], v[109:110]
	v_fma_f64 v[206:207], v[222:223], -0.5, v[210:211]
	v_fma_f64 v[210:211], v[240:241], -0.5, v[178:179]
	v_add_f64 v[170:171], v[214:215], v[174:175]
	v_fma_f64 v[174:175], v[34:35], -0.5, v[182:183]
	v_fma_f64 v[182:183], v[42:43], -0.5, v[186:187]
	;; [unrolled: 1-line block ×3, first 2 shown]
	v_fma_f64 v[178:179], v[66:67], s[2:3], v[58:59]
	v_fma_f64 v[196:197], v[226:227], s[2:3], v[198:199]
	;; [unrolled: 1-line block ×8, first 2 shown]
	scratch_load_b32 v56, off, off offset:560 ; 4-byte Folded Reload
	v_fma_f64 v[40:41], v[44:45], s[2:3], v[180:181]
	v_fma_f64 v[44:45], v[44:45], s[10:11], v[180:181]
	;; [unrolled: 1-line block ×25, first 2 shown]
	s_waitcnt vmcnt(0)
	ds_store_b128 v56, v[12:15]
	ds_store_b128 v56, v[32:35] offset:16
	ds_store_b128 v56, v[36:39] offset:32
	scratch_load_b32 v12, off, off offset:620 ; 4-byte Folded Reload
	s_waitcnt vmcnt(0)
	ds_store_b128 v12, v[4:7]
	ds_store_b128 v12, v[40:43] offset:16
	ds_store_b128 v12, v[44:47] offset:32
	scratch_load_b32 v4, off, off offset:612 ; 4-byte Folded Reload
	;; [unrolled: 5-line block ×7, first 2 shown]
	s_waitcnt vmcnt(0)
	ds_store_b128 v0, v[28:31]
	ds_store_b128 v0, v[212:215] offset:16
	ds_store_b128 v0, v[216:219] offset:32
	s_and_saveexec_b32 s1, vcc_lo
	s_cbranch_execz .LBB0_21
; %bb.20:
	scratch_load_b32 v0, off, off offset:1396 ; 4-byte Folded Reload
	s_waitcnt vmcnt(0)
	v_lshlrev_b32_e32 v0, 4, v0
	ds_store_b128 v0, v[168:171]
	ds_store_b128 v0, v[204:207] offset:16
	ds_store_b128 v0, v[208:211] offset:32
.LBB0_21:
	s_or_b32 exec_lo, exec_lo, s1
	s_waitcnt lgkmcnt(0)
	s_barrier
	buffer_gl0_inv
	ds_load_b128 v[200:203], v108
	ds_load_b128 v[196:199], v108 offset:1008
	ds_load_b128 v[252:255], v108 offset:8400
	;; [unrolled: 1-line block ×23, first 2 shown]
	s_and_saveexec_b32 s1, vcc_lo
	s_cbranch_execz .LBB0_23
; %bb.22:
	ds_load_b128 v[168:171], v108 offset:8064
	ds_load_b128 v[204:207], v108 offset:16464
	;; [unrolled: 1-line block ×3, first 2 shown]
.LBB0_23:
	s_or_b32 exec_lo, exec_lo, s1
	scratch_load_b128 v[24:27], off, off offset:624 ; 16-byte Folded Reload
	s_mov_b32 s10, s2
	s_waitcnt vmcnt(0) lgkmcnt(21)
	v_mul_f64 v[20:21], v[26:27], v[254:255]
	s_delay_alu instid0(VALU_DEP_1)
	v_fma_f64 v[22:23], v[24:25], v[252:253], v[20:21]
	v_mul_f64 v[20:21], v[26:27], v[252:253]
	scratch_load_b128 v[26:29], off, off offset:840 ; 16-byte Folded Reload
	v_add_f64 v[38:39], v[200:201], v[22:23]
	v_fma_f64 v[20:21], v[24:25], v[254:255], -v[20:21]
	s_waitcnt vmcnt(0) lgkmcnt(19)
	v_mul_f64 v[24:25], v[28:29], v[18:19]
	s_delay_alu instid0(VALU_DEP_1) | instskip(SKIP_1) | instid1(VALU_DEP_1)
	v_fma_f64 v[24:25], v[26:27], v[16:17], v[24:25]
	v_mul_f64 v[16:17], v[28:29], v[16:17]
	v_fma_f64 v[18:19], v[26:27], v[18:19], -v[16:17]
	scratch_load_b128 v[26:29], off, off offset:856 ; 16-byte Folded Reload
	v_add_f64 v[40:41], v[20:21], -v[18:19]
	s_waitcnt vmcnt(0)
	v_mul_f64 v[16:17], v[28:29], v[250:251]
	s_delay_alu instid0(VALU_DEP_1) | instskip(SKIP_1) | instid1(VALU_DEP_2)
	v_fma_f64 v[34:35], v[26:27], v[248:249], v[16:17]
	v_mul_f64 v[16:17], v[28:29], v[248:249]
	v_add_f64 v[50:51], v[196:197], v[34:35]
	s_delay_alu instid0(VALU_DEP_2) | instskip(SKIP_3) | instid1(VALU_DEP_1)
	v_fma_f64 v[30:31], v[26:27], v[250:251], -v[16:17]
	scratch_load_b128 v[26:29], off, off offset:872 ; 16-byte Folded Reload
	s_waitcnt vmcnt(0) lgkmcnt(18)
	v_mul_f64 v[16:17], v[28:29], v[246:247]
	v_fma_f64 v[36:37], v[26:27], v[244:245], v[16:17]
	v_mul_f64 v[16:17], v[28:29], v[244:245]
	s_delay_alu instid0(VALU_DEP_1) | instskip(SKIP_4) | instid1(VALU_DEP_1)
	v_fma_f64 v[32:33], v[26:27], v[246:247], -v[16:17]
	scratch_load_b128 v[26:29], off, off offset:904 ; 16-byte Folded Reload
	v_add_f64 v[52:53], v[30:31], -v[32:33]
	s_waitcnt vmcnt(0) lgkmcnt(15)
	v_mul_f64 v[16:17], v[28:29], v[242:243]
	v_fma_f64 v[46:47], v[26:27], v[240:241], v[16:17]
	v_mul_f64 v[16:17], v[28:29], v[240:241]
	s_delay_alu instid0(VALU_DEP_1) | instskip(SKIP_3) | instid1(VALU_DEP_1)
	v_fma_f64 v[42:43], v[26:27], v[242:243], -v[16:17]
	scratch_load_b128 v[26:29], off, off offset:920 ; 16-byte Folded Reload
	s_waitcnt vmcnt(0) lgkmcnt(13)
	v_mul_f64 v[16:17], v[28:29], v[238:239]
	v_fma_f64 v[48:49], v[26:27], v[236:237], v[16:17]
	v_mul_f64 v[16:17], v[28:29], v[236:237]
	s_delay_alu instid0(VALU_DEP_1) | instskip(SKIP_3) | instid1(VALU_DEP_1)
	v_fma_f64 v[44:45], v[26:27], v[238:239], -v[16:17]
	scratch_load_b128 v[26:29], off, off offset:888 ; 16-byte Folded Reload
	s_waitcnt vmcnt(0)
	v_mul_f64 v[16:17], v[28:29], v[234:235]
	v_fma_f64 v[54:55], v[26:27], v[232:233], v[16:17]
	v_mul_f64 v[16:17], v[28:29], v[232:233]
	s_delay_alu instid0(VALU_DEP_1) | instskip(SKIP_3) | instid1(VALU_DEP_1)
	v_fma_f64 v[56:57], v[26:27], v[234:235], -v[16:17]
	scratch_load_b128 v[26:29], off, off offset:936 ; 16-byte Folded Reload
	s_waitcnt vmcnt(0) lgkmcnt(12)
	v_mul_f64 v[16:17], v[28:29], v[226:227]
	v_fma_f64 v[58:59], v[26:27], v[224:225], v[16:17]
	v_mul_f64 v[16:17], v[28:29], v[224:225]
	s_delay_alu instid0(VALU_DEP_1) | instskip(SKIP_3) | instid1(VALU_DEP_1)
	v_fma_f64 v[64:65], v[26:27], v[226:227], -v[16:17]
	scratch_load_b128 v[26:29], off, off offset:952 ; 16-byte Folded Reload
	s_waitcnt vmcnt(0) lgkmcnt(9)
	;; [unrolled: 7-line block ×3, first 2 shown]
	v_mul_f64 v[16:17], v[28:29], v[222:223]
	v_fma_f64 v[70:71], v[26:27], v[220:221], v[16:17]
	v_mul_f64 v[16:17], v[28:29], v[220:221]
	s_delay_alu instid0(VALU_DEP_1) | instskip(SKIP_3) | instid1(VALU_DEP_1)
	v_fma_f64 v[72:73], v[26:27], v[222:223], -v[16:17]
	scratch_load_b128 v[26:29], off, off offset:984 ; 16-byte Folded Reload
	s_waitcnt vmcnt(0)
	v_mul_f64 v[16:17], v[28:29], v[218:219]
	v_fma_f64 v[74:75], v[26:27], v[216:217], v[16:17]
	v_mul_f64 v[16:17], v[28:29], v[216:217]
	s_delay_alu instid0(VALU_DEP_1) | instskip(SKIP_3) | instid1(VALU_DEP_1)
	v_fma_f64 v[109:110], v[26:27], v[218:219], -v[16:17]
	scratch_load_b128 v[26:29], off, off offset:1000 ; 16-byte Folded Reload
	s_waitcnt vmcnt(0) lgkmcnt(6)
	v_mul_f64 v[16:17], v[28:29], v[14:15]
	v_fma_f64 v[216:217], v[26:27], v[12:13], v[16:17]
	v_mul_f64 v[12:13], v[28:29], v[12:13]
	s_delay_alu instid0(VALU_DEP_1)
	v_fma_f64 v[218:219], v[26:27], v[14:15], -v[12:13]
	s_clause 0x1
	scratch_load_b128 v[14:17], off, off offset:1048
	scratch_load_b128 v[26:29], off, off offset:1064
	s_waitcnt vmcnt(1) lgkmcnt(3)
	v_mul_f64 v[12:13], v[16:17], v[214:215]
	s_delay_alu instid0(VALU_DEP_1) | instskip(SKIP_1) | instid1(VALU_DEP_1)
	v_fma_f64 v[220:221], v[14:15], v[212:213], v[12:13]
	v_mul_f64 v[12:13], v[16:17], v[212:213]
	v_fma_f64 v[222:223], v[14:15], v[214:215], -v[12:13]
	scratch_load_b128 v[14:17], off, off offset:1080 ; 16-byte Folded Reload
	s_waitcnt vmcnt(0) lgkmcnt(1)
	v_mul_f64 v[12:13], v[16:17], v[10:11]
	s_delay_alu instid0(VALU_DEP_1) | instskip(SKIP_1) | instid1(VALU_DEP_1)
	v_fma_f64 v[224:225], v[14:15], v[8:9], v[12:13]
	v_mul_f64 v[8:9], v[16:17], v[8:9]
	v_fma_f64 v[226:227], v[14:15], v[10:11], -v[8:9]
	scratch_load_b128 v[10:13], off, off offset:1096 ; 16-byte Folded Reload
	s_waitcnt vmcnt(0)
	v_mul_f64 v[8:9], v[12:13], v[6:7]
	s_delay_alu instid0(VALU_DEP_1) | instskip(SKIP_1) | instid1(VALU_DEP_1)
	v_fma_f64 v[16:17], v[10:11], v[4:5], v[8:9]
	v_mul_f64 v[4:5], v[12:13], v[4:5]
	v_fma_f64 v[4:5], v[10:11], v[6:7], -v[4:5]
	scratch_load_b128 v[8:11], off, off offset:1016 ; 16-byte Folded Reload
	s_waitcnt vmcnt(0) lgkmcnt(0)
	v_mul_f64 v[6:7], v[10:11], v[2:3]
	s_delay_alu instid0(VALU_DEP_1)
	v_fma_f64 v[6:7], v[8:9], v[0:1], v[6:7]
	v_mul_f64 v[0:1], v[10:11], v[0:1]
	scratch_load_b128 v[10:13], off, off offset:1032 ; 16-byte Folded Reload
	s_waitcnt vmcnt(0)
	s_barrier
	buffer_gl0_inv
	v_fma_f64 v[0:1], v[8:9], v[2:3], -v[0:1]
	v_mul_f64 v[2:3], v[12:13], v[206:207]
	s_delay_alu instid0(VALU_DEP_1) | instskip(SKIP_1) | instid1(VALU_DEP_1)
	v_fma_f64 v[8:9], v[10:11], v[204:205], v[2:3]
	v_mul_f64 v[2:3], v[12:13], v[204:205]
	v_fma_f64 v[14:15], v[10:11], v[206:207], -v[2:3]
	v_mul_f64 v[2:3], v[28:29], v[210:211]
	s_delay_alu instid0(VALU_DEP_1) | instskip(SKIP_1) | instid1(VALU_DEP_1)
	v_fma_f64 v[10:11], v[26:27], v[208:209], v[2:3]
	v_mul_f64 v[2:3], v[28:29], v[208:209]
	v_fma_f64 v[12:13], v[26:27], v[210:211], -v[2:3]
	v_add_f64 v[26:27], v[20:21], v[18:19]
	v_add_f64 v[2:3], v[22:23], v[24:25]
	s_delay_alu instid0(VALU_DEP_2) | instskip(SKIP_1) | instid1(VALU_DEP_3)
	v_fma_f64 v[28:29], v[26:27], -0.5, v[202:203]
	v_add_f64 v[26:27], v[202:203], v[20:21]
	v_fma_f64 v[2:3], v[2:3], -0.5, v[200:201]
	s_delay_alu instid0(VALU_DEP_2) | instskip(SKIP_2) | instid1(VALU_DEP_4)
	v_add_f64 v[20:21], v[26:27], v[18:19]
	v_add_f64 v[18:19], v[38:39], v[24:25]
	v_add_f64 v[38:39], v[22:23], -v[24:25]
	v_fma_f64 v[22:23], v[40:41], s[2:3], v[2:3]
	v_fma_f64 v[26:27], v[40:41], s[10:11], v[2:3]
	v_add_f64 v[2:3], v[34:35], v[36:37]
	s_delay_alu instid0(VALU_DEP_4) | instskip(SKIP_2) | instid1(VALU_DEP_4)
	v_fma_f64 v[24:25], v[38:39], s[10:11], v[28:29]
	v_fma_f64 v[28:29], v[38:39], s[2:3], v[28:29]
	v_add_f64 v[38:39], v[30:31], v[32:33]
	v_fma_f64 v[2:3], v[2:3], -0.5, v[196:197]
	s_delay_alu instid0(VALU_DEP_2) | instskip(SKIP_4) | instid1(VALU_DEP_4)
	v_fma_f64 v[40:41], v[38:39], -0.5, v[198:199]
	v_add_f64 v[38:39], v[198:199], v[30:31]
	v_add_f64 v[30:31], v[50:51], v[36:37]
	v_add_f64 v[50:51], v[34:35], -v[36:37]
	v_fma_f64 v[34:35], v[52:53], s[2:3], v[2:3]
	v_add_f64 v[32:33], v[38:39], v[32:33]
	v_fma_f64 v[38:39], v[52:53], s[10:11], v[2:3]
	v_add_f64 v[2:3], v[46:47], v[48:49]
	v_fma_f64 v[36:37], v[50:51], s[10:11], v[40:41]
	v_fma_f64 v[40:41], v[50:51], s[2:3], v[40:41]
	v_add_f64 v[50:51], v[42:43], v[44:45]
	s_delay_alu instid0(VALU_DEP_4) | instskip(SKIP_1) | instid1(VALU_DEP_3)
	v_fma_f64 v[2:3], v[2:3], -0.5, v[192:193]
	v_add_f64 v[192:193], v[192:193], v[46:47]
	v_fma_f64 v[52:53], v[50:51], -0.5, v[194:195]
	v_add_f64 v[50:51], v[194:195], v[42:43]
	v_add_f64 v[194:195], v[42:43], -v[44:45]
	s_delay_alu instid0(VALU_DEP_4) | instskip(SKIP_1) | instid1(VALU_DEP_4)
	v_add_f64 v[42:43], v[192:193], v[48:49]
	v_add_f64 v[192:193], v[46:47], -v[48:49]
	v_add_f64 v[44:45], v[50:51], v[44:45]
	s_delay_alu instid0(VALU_DEP_4)
	v_fma_f64 v[46:47], v[194:195], s[2:3], v[2:3]
	v_fma_f64 v[50:51], v[194:195], s[10:11], v[2:3]
	v_add_f64 v[2:3], v[54:55], v[58:59]
	v_fma_f64 v[48:49], v[192:193], s[10:11], v[52:53]
	v_fma_f64 v[52:53], v[192:193], s[2:3], v[52:53]
	v_add_f64 v[192:193], v[56:57], v[64:65]
	s_delay_alu instid0(VALU_DEP_4) | instskip(SKIP_2) | instid1(VALU_DEP_4)
	v_fma_f64 v[2:3], v[2:3], -0.5, v[188:189]
	v_add_f64 v[188:189], v[188:189], v[54:55]
	v_add_f64 v[54:55], v[54:55], -v[58:59]
	v_fma_f64 v[198:199], v[192:193], -0.5, v[190:191]
	v_add_f64 v[190:191], v[190:191], v[56:57]
	v_add_f64 v[56:57], v[56:57], -v[64:65]
	v_add_f64 v[188:189], v[188:189], v[58:59]
	v_add_f64 v[58:59], v[184:185], v[66:67]
	v_fma_f64 v[194:195], v[54:55], s[10:11], v[198:199]
	v_fma_f64 v[198:199], v[54:55], s[2:3], v[198:199]
	v_fma_f64 v[192:193], v[56:57], s[2:3], v[2:3]
	v_fma_f64 v[196:197], v[56:57], s[10:11], v[2:3]
	v_add_f64 v[54:55], v[68:69], v[72:73]
	v_add_f64 v[56:57], v[186:187], v[68:69]
	;; [unrolled: 1-line block ×4, first 2 shown]
	v_add_f64 v[64:65], v[68:69], -v[72:73]
	v_fma_f64 v[54:55], v[54:55], -0.5, v[186:187]
	v_add_f64 v[186:187], v[56:57], v[72:73]
	v_add_f64 v[56:57], v[66:67], -v[70:71]
	v_fma_f64 v[2:3], v[2:3], -0.5, v[184:185]
	v_add_f64 v[184:185], v[58:59], v[70:71]
	v_add_f64 v[58:59], v[180:181], v[74:75]
	s_delay_alu instid0(VALU_DEP_4)
	v_fma_f64 v[202:203], v[56:57], s[10:11], v[54:55]
	v_fma_f64 v[206:207], v[56:57], s[2:3], v[54:55]
	v_add_f64 v[54:55], v[109:110], v[218:219]
	v_add_f64 v[56:57], v[182:183], v[109:110]
	v_fma_f64 v[200:201], v[64:65], s[2:3], v[2:3]
	v_fma_f64 v[204:205], v[64:65], s[10:11], v[2:3]
	v_add_f64 v[2:3], v[74:75], v[216:217]
	v_add_f64 v[64:65], v[109:110], -v[218:219]
	v_fma_f64 v[54:55], v[54:55], -0.5, v[182:183]
	v_add_f64 v[182:183], v[56:57], v[218:219]
	v_add_f64 v[56:57], v[74:75], -v[216:217]
	v_fma_f64 v[2:3], v[2:3], -0.5, v[180:181]
	v_add_f64 v[180:181], v[58:59], v[216:217]
	v_add_f64 v[58:59], v[176:177], v[220:221]
	s_delay_alu instid0(VALU_DEP_4)
	v_fma_f64 v[210:211], v[56:57], s[10:11], v[54:55]
	v_fma_f64 v[214:215], v[56:57], s[2:3], v[54:55]
	v_add_f64 v[54:55], v[222:223], v[226:227]
	v_add_f64 v[56:57], v[178:179], v[222:223]
	v_fma_f64 v[208:209], v[64:65], s[2:3], v[2:3]
	v_fma_f64 v[212:213], v[64:65], s[10:11], v[2:3]
	v_add_f64 v[2:3], v[220:221], v[224:225]
	v_add_f64 v[64:65], v[222:223], -v[226:227]
	v_fma_f64 v[54:55], v[54:55], -0.5, v[178:179]
	v_add_f64 v[178:179], v[56:57], v[226:227]
	v_add_f64 v[56:57], v[220:221], -v[224:225]
	v_fma_f64 v[2:3], v[2:3], -0.5, v[176:177]
	v_add_f64 v[176:177], v[58:59], v[224:225]
	v_add_f64 v[58:59], v[172:173], v[16:17]
	s_delay_alu instid0(VALU_DEP_4)
	v_fma_f64 v[218:219], v[56:57], s[10:11], v[54:55]
	v_fma_f64 v[222:223], v[56:57], s[2:3], v[54:55]
	v_add_f64 v[54:55], v[4:5], v[0:1]
	v_add_f64 v[56:57], v[174:175], v[4:5]
	v_fma_f64 v[216:217], v[64:65], s[2:3], v[2:3]
	v_fma_f64 v[220:221], v[64:65], s[10:11], v[2:3]
	v_add_f64 v[2:3], v[16:17], v[6:7]
	v_add_f64 v[4:5], v[4:5], -v[0:1]
	v_fma_f64 v[54:55], v[54:55], -0.5, v[174:175]
	v_add_f64 v[174:175], v[56:57], v[0:1]
	v_add_f64 v[0:1], v[16:17], -v[6:7]
	v_add_f64 v[16:17], v[8:9], -v[10:11]
	v_fma_f64 v[2:3], v[2:3], -0.5, v[172:173]
	v_add_f64 v[172:173], v[58:59], v[6:7]
	s_delay_alu instid0(VALU_DEP_4)
	v_fma_f64 v[226:227], v[0:1], s[10:11], v[54:55]
	v_fma_f64 v[230:231], v[0:1], s[2:3], v[54:55]
	v_add_f64 v[0:1], v[8:9], v[10:11]
	v_fma_f64 v[224:225], v[4:5], s[2:3], v[2:3]
	v_fma_f64 v[228:229], v[4:5], s[10:11], v[2:3]
	v_add_f64 v[4:5], v[14:15], -v[12:13]
	s_delay_alu instid0(VALU_DEP_4) | instskip(SKIP_1) | instid1(VALU_DEP_1)
	v_fma_f64 v[2:3], v[0:1], -0.5, v[168:169]
	v_add_f64 v[0:1], v[14:15], v[12:13]
	v_fma_f64 v[6:7], v[0:1], -0.5, v[170:171]
	s_delay_alu instid0(VALU_DEP_3) | instskip(SKIP_1) | instid1(VALU_DEP_3)
	v_fma_f64 v[0:1], v[4:5], s[2:3], v[2:3]
	v_fma_f64 v[4:5], v[4:5], s[10:11], v[2:3]
	;; [unrolled: 1-line block ×4, first 2 shown]
	scratch_load_b32 v16, off, off offset:708 ; 4-byte Folded Reload
	s_waitcnt vmcnt(0)
	ds_store_b128 v16, v[18:21]
	ds_store_b128 v16, v[22:25] offset:48
	ds_store_b128 v16, v[26:29] offset:96
	scratch_load_b32 v16, off, off offset:688 ; 4-byte Folded Reload
	s_waitcnt vmcnt(0)
	ds_store_b128 v16, v[30:33]
	ds_store_b128 v16, v[34:37] offset:48
	ds_store_b128 v16, v[38:41] offset:96
	scratch_load_b32 v16, off, off offset:684 ; 4-byte Folded Reload
	s_waitcnt vmcnt(0)
	ds_store_b128 v16, v[42:45]
	ds_store_b128 v16, v[46:49] offset:48
	ds_store_b128 v16, v[50:53] offset:96
	scratch_load_b32 v16, off, off offset:680 ; 4-byte Folded Reload
	s_waitcnt vmcnt(0)
	ds_store_b128 v16, v[188:191]
	ds_store_b128 v16, v[192:195] offset:48
	ds_store_b128 v16, v[196:199] offset:96
	scratch_load_b32 v16, off, off offset:676 ; 4-byte Folded Reload
	s_waitcnt vmcnt(0)
	ds_store_b128 v16, v[184:187]
	ds_store_b128 v16, v[200:203] offset:48
	ds_store_b128 v16, v[204:207] offset:96
	scratch_load_b32 v16, off, off offset:672 ; 4-byte Folded Reload
	s_waitcnt vmcnt(0)
	ds_store_b128 v16, v[180:183]
	ds_store_b128 v16, v[208:211] offset:48
	ds_store_b128 v16, v[212:215] offset:96
	scratch_load_b32 v16, off, off offset:668 ; 4-byte Folded Reload
	s_waitcnt vmcnt(0)
	ds_store_b128 v16, v[176:179]
	ds_store_b128 v16, v[216:219] offset:48
	ds_store_b128 v16, v[220:223] offset:96
	scratch_load_b32 v16, off, off offset:648 ; 4-byte Folded Reload
	s_waitcnt vmcnt(0)
	ds_store_b128 v16, v[172:175]
	ds_store_b128 v16, v[224:227] offset:48
	ds_store_b128 v16, v[228:231] offset:96
	s_and_saveexec_b32 s1, vcc_lo
	s_cbranch_execz .LBB0_25
; %bb.24:
	v_add_f64 v[8:9], v[168:169], v[8:9]
	v_add_f64 v[14:15], v[170:171], v[14:15]
	s_delay_alu instid0(VALU_DEP_2) | instskip(SKIP_4) | instid1(VALU_DEP_1)
	v_add_f64 v[10:11], v[8:9], v[10:11]
	scratch_load_b32 v8, off, off offset:644 ; 4-byte Folded Reload
	v_add_f64 v[12:13], v[14:15], v[12:13]
	s_waitcnt vmcnt(0)
	v_and_b32_e32 v8, 0xffff, v8
	v_lshlrev_b32_e32 v8, 4, v8
	ds_store_b128 v8, v[0:3] offset:48
	ds_store_b128 v8, v[10:13]
	ds_store_b128 v8, v[4:7] offset:96
.LBB0_25:
	s_or_b32 exec_lo, exec_lo, s1
	s_waitcnt lgkmcnt(0)
	s_barrier
	buffer_gl0_inv
	ds_load_b128 v[8:11], v108 offset:5040
	ds_load_b128 v[12:15], v108 offset:10080
	;; [unrolled: 1-line block ×3, first 2 shown]
	s_clause 0x1
	scratch_load_b128 v[38:41], off, off offset:464
	scratch_load_b128 v[44:47], off, off offset:480
	ds_load_b128 v[20:23], v108 offset:11088
	ds_load_b128 v[24:27], v108 offset:15120
	s_mov_b32 s2, 0x134454ff
	s_mov_b32 s3, 0xbfee6f0e
	s_mov_b32 s10, 0x4755a5e
	s_mov_b32 s11, 0xbfe2cf23
	s_mov_b32 s17, 0x3fee6f0e
	s_mov_b32 s16, s2
	s_mov_b32 s15, 0x3fe2cf23
	s_mov_b32 s14, s10
	s_mov_b32 s12, 0x372fe950
	s_mov_b32 s13, 0x3fd3c6ef
	s_waitcnt vmcnt(1) lgkmcnt(4)
	v_mul_f64 v[28:29], v[40:41], v[10:11]
	v_mul_f64 v[30:31], v[40:41], v[8:9]
	s_waitcnt vmcnt(0) lgkmcnt(3)
	v_mul_f64 v[32:33], v[46:47], v[14:15]
	v_mul_f64 v[34:35], v[46:47], v[12:13]
	scratch_load_b128 v[46:49], off, off offset:496 ; 16-byte Folded Reload
	v_fma_f64 v[36:37], v[38:39], v[8:9], v[28:29]
	v_fma_f64 v[38:39], v[38:39], v[10:11], -v[30:31]
	ds_load_b128 v[8:11], v108 offset:14112
	v_fma_f64 v[32:33], v[44:45], v[12:13], v[32:33]
	v_fma_f64 v[34:35], v[44:45], v[14:15], -v[34:35]
	ds_load_b128 v[12:15], v108 offset:20160
	ds_load_b128 v[28:31], v108 offset:21168
	s_clause 0x1
	scratch_load_b128 v[50:53], off, off offset:512
	scratch_load_b128 v[54:57], off, off offset:528
	s_waitcnt vmcnt(2) lgkmcnt(3)
	v_mul_f64 v[40:41], v[48:49], v[26:27]
	v_mul_f64 v[42:43], v[48:49], v[24:25]
	s_delay_alu instid0(VALU_DEP_2) | instskip(NEXT) | instid1(VALU_DEP_2)
	v_fma_f64 v[40:41], v[46:47], v[24:25], v[40:41]
	v_fma_f64 v[42:43], v[46:47], v[26:27], -v[42:43]
	s_waitcnt vmcnt(1) lgkmcnt(1)
	v_mul_f64 v[44:45], v[52:53], v[14:15]
	v_mul_f64 v[24:25], v[52:53], v[12:13]
	s_waitcnt vmcnt(0)
	v_mul_f64 v[46:47], v[56:57], v[22:23]
	v_mul_f64 v[48:49], v[56:57], v[20:21]
	s_delay_alu instid0(VALU_DEP_4) | instskip(NEXT) | instid1(VALU_DEP_4)
	v_fma_f64 v[44:45], v[50:51], v[12:13], v[44:45]
	v_fma_f64 v[50:51], v[50:51], v[14:15], -v[24:25]
	ds_load_b128 v[12:15], v108 offset:16128
	ds_load_b128 v[24:27], v108 offset:17136
	s_clause 0x3
	scratch_load_b128 v[56:59], off, off offset:544
	scratch_load_b128 v[70:73], off, off offset:580
	;; [unrolled: 1-line block ×4, first 2 shown]
	v_fma_f64 v[46:47], v[54:55], v[20:21], v[46:47]
	v_fma_f64 v[48:49], v[54:55], v[22:23], -v[48:49]
	ds_load_b128 v[20:23], v108 offset:6048
	s_waitcnt vmcnt(3) lgkmcnt(2)
	v_mul_f64 v[52:53], v[58:59], v[14:15]
	v_mul_f64 v[54:55], v[58:59], v[12:13]
	s_waitcnt vmcnt(2)
	v_mul_f64 v[64:65], v[72:73], v[30:31]
	s_delay_alu instid0(VALU_DEP_3) | instskip(NEXT) | instid1(VALU_DEP_3)
	v_fma_f64 v[52:53], v[56:57], v[12:13], v[52:53]
	v_fma_f64 v[54:55], v[56:57], v[14:15], -v[54:55]
	ds_load_b128 v[12:15], v108 offset:7056
	s_waitcnt vmcnt(1) lgkmcnt(1)
	v_mul_f64 v[56:57], v[68:69], v[22:23]
	v_mul_f64 v[58:59], v[68:69], v[20:21]
	v_fma_f64 v[64:65], v[70:71], v[28:29], v[64:65]
	s_waitcnt vmcnt(0) lgkmcnt(0)
	v_mul_f64 v[68:69], v[170:171], v[12:13]
	s_delay_alu instid0(VALU_DEP_4) | instskip(SKIP_4) | instid1(VALU_DEP_4)
	v_fma_f64 v[56:57], v[66:67], v[20:21], v[56:57]
	v_mul_f64 v[20:21], v[72:73], v[28:29]
	v_fma_f64 v[58:59], v[66:67], v[22:23], -v[58:59]
	v_mul_f64 v[66:67], v[170:171], v[14:15]
	v_fma_f64 v[68:69], v[168:169], v[14:15], -v[68:69]
	v_fma_f64 v[70:71], v[70:71], v[30:31], -v[20:21]
	ds_load_b128 v[20:23], v108 offset:12096
	ds_load_b128 v[28:31], v108 offset:13104
	s_clause 0x1
	scratch_load_b128 v[170:173], off, off offset:564
	scratch_load_b128 v[176:179], off, off offset:1148
	v_fma_f64 v[66:67], v[168:169], v[12:13], v[66:67]
	s_waitcnt vmcnt(1) lgkmcnt(1)
	v_mul_f64 v[72:73], v[172:173], v[22:23]
	v_mul_f64 v[12:13], v[172:173], v[20:21]
	s_waitcnt vmcnt(0)
	v_mul_f64 v[74:75], v[178:179], v[26:27]
	v_mul_f64 v[109:110], v[178:179], v[24:25]
	s_delay_alu instid0(VALU_DEP_4) | instskip(NEXT) | instid1(VALU_DEP_4)
	v_fma_f64 v[72:73], v[170:171], v[20:21], v[72:73]
	v_fma_f64 v[184:185], v[170:171], v[22:23], -v[12:13]
	ds_load_b128 v[12:15], v108 offset:22176
	ds_load_b128 v[20:23], v108 offset:23184
	s_clause 0x1
	scratch_load_b128 v[172:175], off, off offset:1132
	scratch_load_b128 v[178:181], off, off offset:1196
	v_fma_f64 v[74:75], v[176:177], v[24:25], v[74:75]
	v_fma_f64 v[109:110], v[176:177], v[26:27], -v[109:110]
	ds_load_b128 v[24:27], v108 offset:8064
	scratch_load_b128 v[190:193], off, off offset:1260 ; 16-byte Folded Reload
	s_waitcnt vmcnt(2) lgkmcnt(2)
	v_mul_f64 v[168:169], v[174:175], v[14:15]
	v_mul_f64 v[170:171], v[174:175], v[12:13]
	scratch_load_b128 v[174:177], off, off offset:1164 ; 16-byte Folded Reload
	v_fma_f64 v[186:187], v[172:173], v[12:13], v[168:169]
	v_fma_f64 v[188:189], v[172:173], v[14:15], -v[170:171]
	ds_load_b128 v[12:15], v108 offset:9072
	s_waitcnt vmcnt(2) lgkmcnt(1)
	v_mul_f64 v[168:169], v[180:181], v[26:27]
	v_mul_f64 v[170:171], v[180:181], v[24:25]
	s_delay_alu instid0(VALU_DEP_2) | instskip(NEXT) | instid1(VALU_DEP_2)
	v_fma_f64 v[204:205], v[178:179], v[24:25], v[168:169]
	v_fma_f64 v[206:207], v[178:179], v[26:27], -v[170:171]
	scratch_load_b128 v[178:181], off, off offset:1212 ; 16-byte Folded Reload
	ds_load_b128 v[24:27], v108 offset:18144
	s_waitcnt vmcnt(1)
	v_mul_f64 v[172:173], v[176:177], v[30:31]
	v_mul_f64 v[168:169], v[176:177], v[28:29]
	s_delay_alu instid0(VALU_DEP_2) | instskip(NEXT) | instid1(VALU_DEP_2)
	v_fma_f64 v[208:209], v[174:175], v[28:29], v[172:173]
	v_fma_f64 v[210:211], v[174:175], v[30:31], -v[168:169]
	ds_load_b128 v[28:31], v108 offset:19152
	scratch_load_b128 v[174:177], off, off offset:1180 ; 16-byte Folded Reload
	s_waitcnt vmcnt(1) lgkmcnt(1)
	v_mul_f64 v[168:169], v[180:181], v[26:27]
	v_mul_f64 v[170:171], v[180:181], v[24:25]
	s_delay_alu instid0(VALU_DEP_2) | instskip(NEXT) | instid1(VALU_DEP_2)
	v_fma_f64 v[212:213], v[178:179], v[24:25], v[168:169]
	v_fma_f64 v[214:215], v[178:179], v[26:27], -v[170:171]
	scratch_load_b128 v[178:181], off, off offset:1244 ; 16-byte Folded Reload
	v_mul_f64 v[26:27], v[192:193], v[14:15]
	v_mul_f64 v[168:169], v[192:193], v[12:13]
	scratch_load_b128 v[192:195], off, off offset:1276 ; 16-byte Folded Reload
	v_fma_f64 v[220:221], v[190:191], v[12:13], v[26:27]
	v_fma_f64 v[222:223], v[190:191], v[14:15], -v[168:169]
	v_add_f64 v[168:169], v[38:39], -v[50:51]
	s_waitcnt vmcnt(2)
	v_mul_f64 v[24:25], v[176:177], v[20:21]
	v_mul_f64 v[172:173], v[176:177], v[22:23]
	v_add_f64 v[176:177], v[32:33], v[40:41]
	s_delay_alu instid0(VALU_DEP_3) | instskip(NEXT) | instid1(VALU_DEP_3)
	v_fma_f64 v[218:219], v[174:175], v[22:23], -v[24:25]
	v_fma_f64 v[216:217], v[174:175], v[20:21], v[172:173]
	ds_load_b128 v[12:15], v108 offset:24192
	ds_load_b128 v[20:23], v108
	s_waitcnt vmcnt(1)
	v_mul_f64 v[24:25], v[180:181], v[10:11]
	v_mul_f64 v[170:171], v[180:181], v[8:9]
	s_waitcnt vmcnt(0) lgkmcnt(2)
	v_mul_f64 v[172:173], v[194:195], v[30:31]
	v_mul_f64 v[174:175], v[194:195], v[28:29]
	s_delay_alu instid0(VALU_DEP_4) | instskip(NEXT) | instid1(VALU_DEP_4)
	v_fma_f64 v[224:225], v[178:179], v[8:9], v[24:25]
	v_fma_f64 v[226:227], v[178:179], v[10:11], -v[170:171]
	scratch_load_b128 v[178:181], off, off offset:1228 ; 16-byte Folded Reload
	v_fma_f64 v[228:229], v[192:193], v[28:29], v[172:173]
	v_fma_f64 v[230:231], v[192:193], v[30:31], -v[174:175]
	v_add_f64 v[28:29], v[36:37], -v[32:33]
	v_add_f64 v[30:31], v[44:45], -v[40:41]
	s_waitcnt lgkmcnt(0)
	v_fma_f64 v[170:171], v[176:177], -0.5, v[20:21]
	v_add_f64 v[172:173], v[34:35], v[42:43]
	v_add_f64 v[176:177], v[32:33], -v[40:41]
	ds_load_b128 v[8:11], v108 offset:1008
	v_add_f64 v[28:29], v[28:29], v[30:31]
	v_fma_f64 v[30:31], v[168:169], s[2:3], v[170:171]
	v_fma_f64 v[172:173], v[172:173], -0.5, v[22:23]
	s_waitcnt vmcnt(0)
	v_mul_f64 v[24:25], v[180:181], v[14:15]
	v_mul_f64 v[26:27], v[180:181], v[12:13]
	s_delay_alu instid0(VALU_DEP_2) | instskip(NEXT) | instid1(VALU_DEP_2)
	v_fma_f64 v[232:233], v[178:179], v[12:13], v[24:25]
	v_fma_f64 v[234:235], v[178:179], v[14:15], -v[26:27]
	v_add_f64 v[12:13], v[34:35], -v[42:43]
	v_add_f64 v[14:15], v[36:37], -v[44:45]
	;; [unrolled: 1-line block ×5, first 2 shown]
	s_delay_alu instid0(VALU_DEP_2)
	v_add_f64 v[174:175], v[24:25], v[26:27]
	v_fma_f64 v[24:25], v[12:13], s[10:11], v[30:31]
	v_fma_f64 v[30:31], v[168:169], s[16:17], v[170:171]
	;; [unrolled: 1-line block ×4, first 2 shown]
	v_add_f64 v[172:173], v[38:39], v[50:51]
	v_fma_f64 v[24:25], v[28:29], s[12:13], v[24:25]
	v_fma_f64 v[30:31], v[12:13], s[14:15], v[30:31]
	;; [unrolled: 1-line block ×4, first 2 shown]
	v_fma_f64 v[172:173], v[172:173], -0.5, v[22:23]
	v_add_f64 v[22:23], v[22:23], v[38:39]
	v_fma_f64 v[28:29], v[28:29], s[12:13], v[30:31]
	v_fma_f64 v[30:31], v[174:175], s[12:13], v[170:171]
	v_add_f64 v[170:171], v[36:37], v[44:45]
	v_fma_f64 v[26:27], v[174:175], s[12:13], v[26:27]
	v_add_f64 v[174:175], v[32:33], -v[36:37]
	v_add_f64 v[22:23], v[22:23], v[34:35]
	s_delay_alu instid0(VALU_DEP_4) | instskip(SKIP_1) | instid1(VALU_DEP_3)
	v_fma_f64 v[170:171], v[170:171], -0.5, v[20:21]
	v_add_f64 v[20:21], v[20:21], v[36:37]
	v_add_f64 v[22:23], v[22:23], v[42:43]
	s_delay_alu instid0(VALU_DEP_2) | instskip(SKIP_1) | instid1(VALU_DEP_3)
	v_add_f64 v[20:21], v[20:21], v[32:33]
	v_add_f64 v[32:33], v[46:47], v[52:53]
	;; [unrolled: 1-line block ×3, first 2 shown]
	v_fma_f64 v[22:23], v[12:13], s[16:17], v[170:171]
	v_fma_f64 v[12:13], v[12:13], s[2:3], v[170:171]
	v_add_f64 v[20:21], v[20:21], v[40:41]
	s_waitcnt lgkmcnt(0)
	v_fma_f64 v[180:181], v[32:33], -0.5, v[8:9]
	v_add_f64 v[32:33], v[56:57], v[64:65]
	v_add_f64 v[40:41], v[40:41], -v[44:45]
	v_fma_f64 v[22:23], v[168:169], s[10:11], v[22:23]
	v_fma_f64 v[12:13], v[168:169], s[14:15], v[12:13]
	s_delay_alu instid0(VALU_DEP_4) | instskip(SKIP_2) | instid1(VALU_DEP_2)
	v_fma_f64 v[182:183], v[32:33], -0.5, v[8:9]
	v_add_f64 v[32:33], v[48:49], v[54:55]
	v_add_f64 v[8:9], v[8:9], v[56:57]
	v_fma_f64 v[190:191], v[32:33], -0.5, v[10:11]
	v_add_f64 v[32:33], v[58:59], v[70:71]
	s_delay_alu instid0(VALU_DEP_3) | instskip(NEXT) | instid1(VALU_DEP_2)
	v_add_f64 v[8:9], v[8:9], v[46:47]
	v_fma_f64 v[192:193], v[32:33], -0.5, v[10:11]
	v_add_f64 v[10:11], v[10:11], v[58:59]
	s_delay_alu instid0(VALU_DEP_3)
	v_add_f64 v[8:9], v[8:9], v[52:53]
	v_add_f64 v[32:33], v[20:21], v[44:45]
	v_add_f64 v[20:21], v[42:43], -v[50:51]
	v_add_f64 v[42:43], v[58:59], -v[70:71]
	;; [unrolled: 1-line block ×5, first 2 shown]
	v_add_f64 v[10:11], v[10:11], v[48:49]
	v_add_f64 v[48:49], v[48:49], -v[54:55]
	v_add_f64 v[36:37], v[8:9], v[64:65]
	v_add_f64 v[8:9], v[56:57], -v[46:47]
	;; [unrolled: 2-line block ×4, first 2 shown]
	s_delay_alu instid0(VALU_DEP_2)
	v_add_f64 v[38:39], v[10:11], v[70:71]
	v_add_f64 v[10:11], v[46:47], -v[56:57]
	v_add_f64 v[56:57], v[56:57], -v[64:65]
	;; [unrolled: 1-line block ×5, first 2 shown]
	v_add_f64 v[52:53], v[174:175], v[40:41]
	v_fma_f64 v[40:41], v[176:177], s[2:3], v[172:173]
	v_fma_f64 v[170:171], v[56:57], s[2:3], v[190:191]
	v_add_f64 v[8:9], v[8:9], v[70:71]
	v_fma_f64 v[70:71], v[176:177], s[16:17], v[172:173]
	v_add_f64 v[64:65], v[10:11], v[64:65]
	v_add_f64 v[10:11], v[44:45], v[58:59]
	;; [unrolled: 1-line block ×3, first 2 shown]
	v_fma_f64 v[44:45], v[42:43], s[2:3], v[180:181]
	v_fma_f64 v[50:51], v[42:43], s[16:17], v[180:181]
	;; [unrolled: 1-line block ×5, first 2 shown]
	v_add_f64 v[180:181], v[186:187], -v[74:75]
	v_add_f64 v[190:191], v[66:67], -v[186:187]
	v_fma_f64 v[14:15], v[14:15], s[10:11], v[70:71]
	v_fma_f64 v[70:71], v[48:49], s[2:3], v[182:183]
	v_add_f64 v[182:183], v[72:73], v[74:75]
	v_fma_f64 v[172:173], v[48:49], s[10:11], v[44:45]
	v_fma_f64 v[174:175], v[48:49], s[14:15], v[50:51]
	v_fma_f64 v[44:45], v[46:47], s[2:3], v[192:193]
	v_fma_f64 v[48:49], v[46:47], s[16:17], v[192:193]
	v_fma_f64 v[50:51], v[46:47], s[14:15], v[54:55]
	v_fma_f64 v[54:55], v[46:47], s[10:11], v[170:171]
	v_fma_f64 v[170:171], v[42:43], s[10:11], v[40:41]
	v_fma_f64 v[40:41], v[52:53], s[12:13], v[22:23]
	v_add_f64 v[22:23], v[68:69], -v[184:185]
	v_add_f64 v[192:193], v[72:73], -v[74:75]
	v_fma_f64 v[46:47], v[20:21], s[12:13], v[14:15]
	v_fma_f64 v[70:71], v[42:43], s[14:15], v[70:71]
	;; [unrolled: 1-line block ×3, first 2 shown]
	v_add_f64 v[20:21], v[188:189], -v[109:110]
	v_fma_f64 v[176:177], v[56:57], s[14:15], v[44:45]
	v_fma_f64 v[56:57], v[56:57], s[10:11], v[48:49]
	;; [unrolled: 1-line block ×8, first 2 shown]
	ds_load_b128 v[8:11], v108 offset:2016
	ds_load_b128 v[12:15], v108 offset:3024
	s_waitcnt lgkmcnt(0)
	s_barrier
	buffer_gl0_inv
	v_fma_f64 v[172:173], v[64:65], s[12:13], v[70:71]
	v_fma_f64 v[64:65], v[182:183], -0.5, v[8:9]
	v_add_f64 v[20:21], v[22:23], v[20:21]
	v_add_f64 v[22:23], v[68:69], -v[188:189]
	v_add_f64 v[70:71], v[184:185], -v[109:110]
	v_fma_f64 v[170:171], v[58:59], s[12:13], v[176:177]
	v_fma_f64 v[174:175], v[58:59], s[12:13], v[56:57]
	v_add_f64 v[58:59], v[184:185], v[109:110]
	v_add_f64 v[56:57], v[178:179], v[180:181]
	v_fma_f64 v[176:177], v[22:23], s[2:3], v[64:65]
	v_fma_f64 v[64:65], v[22:23], s[16:17], v[64:65]
	s_delay_alu instid0(VALU_DEP_4) | instskip(NEXT) | instid1(VALU_DEP_3)
	v_fma_f64 v[58:59], v[58:59], -0.5, v[10:11]
	v_fma_f64 v[176:177], v[70:71], s[10:11], v[176:177]
	s_delay_alu instid0(VALU_DEP_3) | instskip(NEXT) | instid1(VALU_DEP_3)
	v_fma_f64 v[64:65], v[70:71], s[14:15], v[64:65]
	v_fma_f64 v[178:179], v[190:191], s[16:17], v[58:59]
	v_fma_f64 v[58:59], v[190:191], s[2:3], v[58:59]
	s_delay_alu instid0(VALU_DEP_4) | instskip(NEXT) | instid1(VALU_DEP_4)
	v_fma_f64 v[176:177], v[56:57], s[12:13], v[176:177]
	v_fma_f64 v[180:181], v[56:57], s[12:13], v[64:65]
	v_add_f64 v[56:57], v[68:69], v[188:189]
	v_fma_f64 v[178:179], v[192:193], s[14:15], v[178:179]
	v_fma_f64 v[58:59], v[192:193], s[10:11], v[58:59]
	s_delay_alu instid0(VALU_DEP_3) | instskip(SKIP_1) | instid1(VALU_DEP_4)
	v_fma_f64 v[56:57], v[56:57], -0.5, v[10:11]
	v_add_f64 v[10:11], v[10:11], v[68:69]
	v_fma_f64 v[178:179], v[20:21], s[12:13], v[178:179]
	s_delay_alu instid0(VALU_DEP_4) | instskip(SKIP_3) | instid1(VALU_DEP_3)
	v_fma_f64 v[182:183], v[20:21], s[12:13], v[58:59]
	v_add_f64 v[20:21], v[66:67], v[186:187]
	v_add_f64 v[58:59], v[72:73], -v[66:67]
	v_add_f64 v[10:11], v[10:11], v[184:185]
	v_fma_f64 v[20:21], v[20:21], -0.5, v[8:9]
	v_add_f64 v[8:9], v[8:9], v[66:67]
	v_add_f64 v[66:67], v[184:185], -v[68:69]
	v_add_f64 v[68:69], v[74:75], -v[186:187]
	v_add_f64 v[10:11], v[10:11], v[109:110]
	v_fma_f64 v[64:65], v[70:71], s[16:17], v[20:21]
	v_add_f64 v[8:9], v[8:9], v[72:73]
	v_fma_f64 v[20:21], v[70:71], s[2:3], v[20:21]
	v_add_f64 v[58:59], v[58:59], v[68:69]
	v_add_f64 v[68:69], v[206:207], -v[210:211]
	v_add_f64 v[72:73], v[220:221], -v[232:233]
	v_fma_f64 v[64:65], v[22:23], s[10:11], v[64:65]
	v_add_f64 v[8:9], v[8:9], v[74:75]
	v_fma_f64 v[20:21], v[22:23], s[14:15], v[20:21]
	v_add_f64 v[22:23], v[204:205], -v[208:209]
	v_add_f64 v[74:75], v[232:233], -v[228:229]
	s_delay_alu instid0(VALU_DEP_4)
	v_add_f64 v[184:185], v[8:9], v[186:187]
	v_add_f64 v[186:187], v[10:11], v[188:189]
	v_add_f64 v[8:9], v[109:110], -v[188:189]
	v_fma_f64 v[10:11], v[192:193], s[2:3], v[56:57]
	v_fma_f64 v[56:57], v[192:193], s[16:17], v[56:57]
	;; [unrolled: 1-line block ×4, first 2 shown]
	v_add_f64 v[20:21], v[206:207], -v[218:219]
	v_add_f64 v[64:65], v[204:205], -v[216:217]
	v_add_f64 v[8:9], v[66:67], v[8:9]
	v_fma_f64 v[10:11], v[190:191], s[14:15], v[10:11]
	v_fma_f64 v[56:57], v[190:191], s[10:11], v[56:57]
	v_add_f64 v[66:67], v[216:217], -v[212:213]
	s_delay_alu instid0(VALU_DEP_3) | instskip(SKIP_1) | instid1(VALU_DEP_4)
	v_fma_f64 v[190:191], v[8:9], s[12:13], v[10:11]
	v_add_f64 v[10:11], v[208:209], v[212:213]
	v_fma_f64 v[194:195], v[8:9], s[12:13], v[56:57]
	v_add_f64 v[8:9], v[210:211], v[214:215]
	v_add_f64 v[22:23], v[22:23], v[66:67]
	v_add_f64 v[66:67], v[218:219], -v[214:215]
	v_add_f64 v[56:57], v[210:211], -v[214:215]
	v_fma_f64 v[10:11], v[10:11], -0.5, v[12:13]
	v_fma_f64 v[8:9], v[8:9], -0.5, v[14:15]
	s_delay_alu instid0(VALU_DEP_4) | instskip(SKIP_1) | instid1(VALU_DEP_4)
	v_add_f64 v[66:67], v[68:69], v[66:67]
	v_add_f64 v[68:69], v[208:209], -v[212:213]
	v_fma_f64 v[58:59], v[20:21], s[2:3], v[10:11]
	v_fma_f64 v[10:11], v[20:21], s[16:17], v[10:11]
	v_fma_f64 v[70:71], v[64:65], s[16:17], v[8:9]
	v_fma_f64 v[8:9], v[64:65], s[2:3], v[8:9]
	s_delay_alu instid0(VALU_DEP_4) | instskip(NEXT) | instid1(VALU_DEP_4)
	v_fma_f64 v[58:59], v[56:57], s[10:11], v[58:59]
	v_fma_f64 v[10:11], v[56:57], s[14:15], v[10:11]
	s_delay_alu instid0(VALU_DEP_4) | instskip(NEXT) | instid1(VALU_DEP_4)
	v_fma_f64 v[70:71], v[68:69], s[14:15], v[70:71]
	v_fma_f64 v[8:9], v[68:69], s[10:11], v[8:9]
	;; [unrolled: 3-line block ×3, first 2 shown]
	v_add_f64 v[10:11], v[206:207], v[218:219]
	s_delay_alu instid0(VALU_DEP_4)
	v_fma_f64 v[202:203], v[66:67], s[12:13], v[8:9]
	v_add_f64 v[8:9], v[204:205], v[216:217]
	v_fma_f64 v[198:199], v[66:67], s[12:13], v[70:71]
	v_add_f64 v[22:23], v[208:209], -v[204:205]
	v_add_f64 v[70:71], v[220:221], -v[224:225]
	v_fma_f64 v[10:11], v[10:11], -0.5, v[14:15]
	v_add_f64 v[14:15], v[14:15], v[206:207]
	v_fma_f64 v[8:9], v[8:9], -0.5, v[12:13]
	v_add_f64 v[12:13], v[12:13], v[204:205]
	v_add_f64 v[70:71], v[70:71], v[74:75]
	v_fma_f64 v[66:67], v[68:69], s[2:3], v[10:11]
	v_fma_f64 v[10:11], v[68:69], s[16:17], v[10:11]
	;; [unrolled: 1-line block ×3, first 2 shown]
	v_add_f64 v[12:13], v[12:13], v[208:209]
	v_fma_f64 v[8:9], v[56:57], s[2:3], v[8:9]
	v_add_f64 v[68:69], v[212:213], -v[216:217]
	v_add_f64 v[14:15], v[14:15], v[210:211]
	v_add_f64 v[56:57], v[210:211], -v[206:207]
	v_fma_f64 v[10:11], v[64:65], s[10:11], v[10:11]
	v_fma_f64 v[58:59], v[20:21], s[10:11], v[58:59]
	v_add_f64 v[12:13], v[12:13], v[212:213]
	v_fma_f64 v[8:9], v[20:21], s[14:15], v[8:9]
	v_add_f64 v[22:23], v[22:23], v[68:69]
	v_add_f64 v[20:21], v[214:215], -v[218:219]
	v_add_f64 v[14:15], v[14:15], v[214:215]
	v_add_f64 v[68:69], v[224:225], -v[228:229]
	;; [unrolled: 2-line block ×3, first 2 shown]
	v_fma_f64 v[212:213], v[22:23], s[12:13], v[8:9]
	v_add_f64 v[8:9], v[228:229], -v[232:233]
	v_add_f64 v[20:21], v[56:57], v[20:21]
	v_fma_f64 v[208:209], v[22:23], s[12:13], v[58:59]
	v_add_f64 v[22:23], v[226:227], v[230:231]
	v_fma_f64 v[56:57], v[64:65], s[14:15], v[66:67]
	v_add_f64 v[206:207], v[14:15], v[218:219]
	v_add_f64 v[14:15], v[230:231], -v[234:235]
	v_add_f64 v[64:65], v[222:223], -v[234:235]
	v_add_f64 v[8:9], v[12:13], v[8:9]
	v_add_f64 v[12:13], v[222:223], v[234:235]
	v_fma_f64 v[214:215], v[20:21], s[12:13], v[10:11]
	v_add_f64 v[10:11], v[226:227], -v[222:223]
	v_fma_f64 v[22:23], v[22:23], -0.5, v[18:19]
	v_fma_f64 v[210:211], v[20:21], s[12:13], v[56:57]
	v_add_f64 v[56:57], v[226:227], -v[230:231]
	v_fma_f64 v[12:13], v[12:13], -0.5, v[18:19]
	v_add_f64 v[18:19], v[18:19], v[222:223]
	v_add_f64 v[20:21], v[10:11], v[14:15]
	;; [unrolled: 1-line block ×4, first 2 shown]
	v_fma_f64 v[109:110], v[72:73], s[16:17], v[22:23]
	v_fma_f64 v[22:23], v[72:73], s[2:3], v[22:23]
	v_add_f64 v[18:19], v[18:19], v[226:227]
	v_fma_f64 v[14:15], v[14:15], -0.5, v[16:17]
	v_fma_f64 v[10:11], v[10:11], -0.5, v[16:17]
	v_add_f64 v[16:17], v[16:17], v[220:221]
	v_fma_f64 v[74:75], v[68:69], s[14:15], v[109:110]
	v_fma_f64 v[22:23], v[68:69], s[10:11], v[22:23]
	v_add_f64 v[18:19], v[18:19], v[230:231]
	v_fma_f64 v[66:67], v[64:65], s[2:3], v[14:15]
	v_fma_f64 v[14:15], v[64:65], s[16:17], v[14:15]
	;; [unrolled: 1-line block ×4, first 2 shown]
	v_add_f64 v[16:17], v[16:17], v[224:225]
	v_add_f64 v[218:219], v[18:19], v[234:235]
	v_fma_f64 v[18:19], v[68:69], s[2:3], v[12:13]
	v_fma_f64 v[12:13], v[68:69], s[16:17], v[12:13]
	;; [unrolled: 1-line block ×5, first 2 shown]
	v_add_f64 v[16:17], v[16:17], v[228:229]
	v_fma_f64 v[10:11], v[64:65], s[14:15], v[10:11]
	v_add_f64 v[64:65], v[222:223], -v[226:227]
	v_fma_f64 v[18:19], v[72:73], s[14:15], v[18:19]
	v_fma_f64 v[72:73], v[72:73], s[10:11], v[12:13]
	v_fma_f64 v[12:13], v[8:9], s[12:13], v[58:59]
	v_add_f64 v[216:217], v[16:17], v[232:233]
	v_add_f64 v[16:17], v[234:235], -v[230:231]
	v_fma_f64 v[14:15], v[20:21], s[12:13], v[18:19]
	v_fma_f64 v[18:19], v[20:21], s[12:13], v[72:73]
	;; [unrolled: 1-line block ×3, first 2 shown]
	scratch_load_b32 v56, off, off offset:1128 ; 4-byte Folded Reload
	s_waitcnt vmcnt(0)
	ds_store_b128 v56, v[32:35]
	ds_store_b128 v56, v[24:27] offset:144
	ds_store_b128 v56, v[40:43] offset:288
	ds_store_b128 v56, v[44:47] offset:432
	ds_store_b128 v56, v[28:31] offset:576
	scratch_load_b32 v24, off, off offset:1124 ; 4-byte Folded Reload
	v_add_f64 v[64:65], v[64:65], v[16:17]
	v_fma_f64 v[16:17], v[8:9], s[12:13], v[10:11]
	v_fma_f64 v[8:9], v[70:71], s[12:13], v[66:67]
	s_waitcnt vmcnt(0)
	ds_store_b128 v24, v[36:39]
	ds_store_b128 v24, v[48:51] offset:144
	ds_store_b128 v24, v[168:171] offset:288
	;; [unrolled: 1-line block ×4, first 2 shown]
	scratch_load_b32 v24, off, off offset:1120 ; 4-byte Folded Reload
	v_fma_f64 v[10:11], v[64:65], s[12:13], v[74:75]
	v_fma_f64 v[22:23], v[64:65], s[12:13], v[22:23]
	s_waitcnt vmcnt(0)
	ds_store_b128 v24, v[184:187]
	ds_store_b128 v24, v[176:179] offset:144
	ds_store_b128 v24, v[188:191] offset:288
	;; [unrolled: 1-line block ×4, first 2 shown]
	scratch_load_b32 v24, off, off offset:1116 ; 4-byte Folded Reload
	s_waitcnt vmcnt(0)
	ds_store_b128 v24, v[204:207]
	ds_store_b128 v24, v[196:199] offset:144
	ds_store_b128 v24, v[208:211] offset:288
	;; [unrolled: 1-line block ×4, first 2 shown]
	scratch_load_b32 v24, off, off offset:1112 ; 4-byte Folded Reload
	s_waitcnt vmcnt(0)
	ds_store_b128 v24, v[216:219]
	ds_store_b128 v24, v[8:11] offset:144
	ds_store_b128 v24, v[12:15] offset:288
	;; [unrolled: 1-line block ×4, first 2 shown]
	s_waitcnt lgkmcnt(0)
	s_barrier
	buffer_gl0_inv
	ds_load_b128 v[24:27], v108
	ds_load_b128 v[28:31], v108 offset:1008
	ds_load_b128 v[208:211], v108 offset:7200
	ds_load_b128 v[188:191], v108 offset:8208
	ds_load_b128 v[52:55], v108 offset:14400
	ds_load_b128 v[44:47], v108 offset:15408
	ds_load_b128 v[200:203], v108 offset:21600
	ds_load_b128 v[192:195], v108 offset:22608
	ds_load_b128 v[212:215], v108 offset:3600
	ds_load_b128 v[32:35], v108 offset:2016
	ds_load_b128 v[204:207], v108 offset:4608
	ds_load_b128 v[180:183], v108 offset:5616
	ds_load_b128 v[168:171], v108 offset:10800
	ds_load_b128 v[176:179], v108 offset:9216
	ds_load_b128 v[48:51], v108 offset:11808
	ds_load_b128 v[40:43], v108 offset:12816
	ds_load_b128 v[216:219], v108 offset:18000
	ds_load_b128 v[36:39], v108 offset:16416
	ds_load_b128 v[196:199], v108 offset:19008
	ds_load_b128 v[172:175], v108 offset:20016
	ds_load_b128 v[184:187], v108 offset:23616
	s_and_saveexec_b32 s1, s0
	s_cbranch_execz .LBB0_27
; %bb.26:
	ds_load_b128 v[8:11], v108 offset:3024
	ds_load_b128 v[12:15], v108 offset:6624
	;; [unrolled: 1-line block ×7, first 2 shown]
	s_waitcnt lgkmcnt(0)
	scratch_store_b128 off, v[56:59], off offset:8 ; 16-byte Folded Spill
.LBB0_27:
	s_or_b32 exec_lo, exec_lo, s1
	scratch_load_b128 v[66:69], off, off offset:1292 ; 16-byte Folded Reload
	s_mov_b32 s10, 0x37e14327
	s_mov_b32 s2, 0x36b3c0b5
	;; [unrolled: 1-line block ×20, first 2 shown]
	s_waitcnt vmcnt(0) lgkmcnt(12)
	v_mul_f64 v[56:57], v[68:69], v[214:215]
	s_delay_alu instid0(VALU_DEP_1)
	v_fma_f64 v[64:65], v[66:67], v[212:213], v[56:57]
	v_mul_f64 v[56:57], v[68:69], v[212:213]
	scratch_load_b128 v[68:71], off, off offset:1340 ; 16-byte Folded Reload
	v_fma_f64 v[66:67], v[66:67], v[214:215], -v[56:57]
	s_waitcnt vmcnt(0)
	v_mul_f64 v[56:57], v[70:71], v[210:211]
	s_delay_alu instid0(VALU_DEP_1) | instskip(SKIP_1) | instid1(VALU_DEP_1)
	v_fma_f64 v[72:73], v[68:69], v[208:209], v[56:57]
	v_mul_f64 v[56:57], v[70:71], v[208:209]
	v_fma_f64 v[74:75], v[68:69], v[210:211], -v[56:57]
	s_waitcnt lgkmcnt(4)
	v_mul_f64 v[56:57], v[78:79], v[218:219]
	v_mul_f64 v[68:69], v[94:95], v[190:191]
	s_delay_alu instid0(VALU_DEP_2) | instskip(SKIP_2) | instid1(VALU_DEP_2)
	v_fma_f64 v[109:110], v[76:77], v[216:217], v[56:57]
	v_mul_f64 v[56:57], v[78:79], v[216:217]
	v_mul_f64 v[78:79], v[158:159], v[180:181]
	v_fma_f64 v[208:209], v[76:77], v[218:219], -v[56:57]
	v_mul_f64 v[56:57], v[82:83], v[202:203]
	s_waitcnt lgkmcnt(2)
	v_mul_f64 v[76:77], v[142:143], v[198:199]
	s_delay_alu instid0(VALU_DEP_4) | instskip(NEXT) | instid1(VALU_DEP_3)
	v_fma_f64 v[78:79], v[156:157], v[182:183], -v[78:79]
	v_fma_f64 v[210:211], v[80:81], v[200:201], v[56:57]
	v_mul_f64 v[56:57], v[82:83], v[200:201]
	v_mul_f64 v[82:83], v[162:163], v[176:177]
	s_delay_alu instid0(VALU_DEP_2)
	v_fma_f64 v[200:201], v[80:81], v[202:203], -v[56:57]
	v_mul_f64 v[56:57], v[90:91], v[206:207]
	v_fma_f64 v[202:203], v[92:93], v[188:189], v[68:69]
	v_mul_f64 v[68:69], v[94:95], v[188:189]
	v_mul_f64 v[80:81], v[162:163], v[178:179]
	s_waitcnt lgkmcnt(1)
	v_mul_f64 v[94:95], v[102:103], v[172:173]
	v_fma_f64 v[82:83], v[160:161], v[178:179], -v[82:83]
	v_fma_f64 v[58:59], v[88:89], v[204:205], v[56:57]
	v_mul_f64 v[56:57], v[90:91], v[204:205]
	s_waitcnt lgkmcnt(0)
	v_mul_f64 v[90:91], v[106:107], v[184:185]
	v_fma_f64 v[188:189], v[92:93], v[190:191], -v[68:69]
	v_mul_f64 v[68:69], v[146:147], v[194:195]
	v_fma_f64 v[80:81], v[160:161], v[176:177], v[80:81]
	v_fma_f64 v[94:95], v[100:101], v[174:175], -v[94:95]
	v_fma_f64 v[56:57], v[88:89], v[206:207], -v[56:57]
	v_mul_f64 v[88:89], v[106:107], v[186:187]
	v_fma_f64 v[92:93], v[104:105], v[186:187], -v[90:91]
	v_fma_f64 v[70:71], v[144:145], v[192:193], v[68:69]
	v_mul_f64 v[68:69], v[146:147], v[192:193]
	v_mul_f64 v[90:91], v[102:103], v[174:175]
	v_fma_f64 v[88:89], v[104:105], v[184:185], v[88:89]
	scratch_load_b128 v[104:107], off, off offset:1308 ; 16-byte Folded Reload
	v_fma_f64 v[68:69], v[144:145], v[194:195], -v[68:69]
	v_fma_f64 v[144:145], v[140:141], v[196:197], v[76:77]
	v_mul_f64 v[76:77], v[142:143], v[196:197]
	v_fma_f64 v[90:91], v[100:101], v[172:173], v[90:91]
	s_delay_alu instid0(VALU_DEP_4) | instskip(SKIP_1) | instid1(VALU_DEP_4)
	v_add_f64 v[142:143], v[56:57], v[68:69]
	v_add_f64 v[56:57], v[56:57], -v[68:69]
	v_fma_f64 v[140:141], v[140:141], v[198:199], -v[76:77]
	v_mul_f64 v[76:77], v[158:159], v[182:183]
	scratch_load_b128 v[158:161], off, off offset:1356 ; 16-byte Folded Reload
	v_add_f64 v[146:147], v[188:189], v[140:141]
	v_fma_f64 v[76:77], v[156:157], v[180:181], v[76:77]
	v_add_f64 v[140:141], v[188:189], -v[140:141]
	s_delay_alu instid0(VALU_DEP_3)
	v_add_f64 v[172:173], v[146:147], v[142:143]
	s_waitcnt vmcnt(1)
	v_mul_f64 v[100:101], v[106:107], v[170:171]
	v_mul_f64 v[102:103], v[106:107], v[168:169]
	;; [unrolled: 1-line block ×4, first 2 shown]
	s_delay_alu instid0(VALU_DEP_4) | instskip(NEXT) | instid1(VALU_DEP_4)
	v_fma_f64 v[100:101], v[104:105], v[168:169], v[100:101]
	v_fma_f64 v[102:103], v[104:105], v[170:171], -v[102:103]
	v_mul_f64 v[104:105], v[86:87], v[54:55]
	v_mul_f64 v[86:87], v[86:87], v[52:53]
	v_fma_f64 v[48:49], v[96:97], v[48:49], v[106:107]
	v_fma_f64 v[50:51], v[96:97], v[50:51], -v[98:99]
	s_waitcnt vmcnt(0)
	v_mul_f64 v[96:97], v[160:161], v[42:43]
	v_mul_f64 v[98:99], v[160:161], v[40:41]
	v_fma_f64 v[52:53], v[84:85], v[52:53], v[104:105]
	v_fma_f64 v[54:55], v[84:85], v[54:55], -v[86:87]
	v_mul_f64 v[84:85], v[154:155], v[46:47]
	v_mul_f64 v[86:87], v[154:155], v[44:45]
	scratch_load_b128 v[154:157], off, off offset:1324 ; 16-byte Folded Reload
	v_fma_f64 v[40:41], v[158:159], v[40:41], v[96:97]
	v_fma_f64 v[42:43], v[158:159], v[42:43], -v[98:99]
	v_add_f64 v[96:97], v[72:73], v[109:110]
	v_add_f64 v[98:99], v[74:75], v[208:209]
	;; [unrolled: 1-line block ×3, first 2 shown]
	v_add_f64 v[72:73], v[72:73], -v[109:110]
	v_add_f64 v[74:75], v[74:75], -v[208:209]
	;; [unrolled: 1-line block ×3, first 2 shown]
	s_waitcnt vmcnt(0)
	s_waitcnt_vscnt null, 0x0
	s_barrier
	buffer_gl0_inv
	v_add_f64 v[109:110], v[100:101], v[52:53]
	v_add_f64 v[52:53], v[52:53], -v[100:101]
	v_fma_f64 v[44:45], v[152:153], v[44:45], v[84:85]
	v_fma_f64 v[46:47], v[152:153], v[46:47], -v[86:87]
	v_add_f64 v[84:85], v[64:65], v[210:211]
	v_add_f64 v[86:87], v[66:67], v[200:201]
	;; [unrolled: 1-line block ×4, first 2 shown]
	v_add_f64 v[54:55], v[54:55], -v[102:103]
	v_add_f64 v[64:65], v[64:65], -v[210:211]
	;; [unrolled: 1-line block ×4, first 2 shown]
	v_add_f64 v[88:89], v[52:53], v[72:73]
	v_add_f64 v[102:103], v[48:49], v[44:45]
	;; [unrolled: 1-line block ×5, first 2 shown]
	v_add_f64 v[44:45], v[44:45], -v[48:49]
	v_add_f64 v[46:47], v[46:47], -v[50:51]
	;; [unrolled: 1-line block ×5, first 2 shown]
	v_add_f64 v[172:173], v[160:161], v[172:173]
	v_add_f64 v[162:163], v[109:110], v[162:163]
	;; [unrolled: 1-line block ×3, first 2 shown]
	v_add_f64 v[100:101], v[100:101], -v[98:99]
	v_mul_f64 v[68:69], v[68:69], s[10:11]
	v_mul_f64 v[94:95], v[94:95], s[14:15]
	v_add_f64 v[30:31], v[30:31], v[172:173]
	v_add_f64 v[24:25], v[24:25], v[162:163]
	;; [unrolled: 1-line block ×3, first 2 shown]
	s_delay_alu instid0(VALU_DEP_3) | instskip(NEXT) | instid1(VALU_DEP_3)
	v_fma_f64 v[172:173], v[172:173], s[24:25], v[30:31]
	v_fma_f64 v[162:163], v[162:163], s[24:25], v[24:25]
	s_delay_alu instid0(VALU_DEP_3)
	v_fma_f64 v[168:169], v[168:169], s[24:25], v[26:27]
	v_mul_f64 v[104:105], v[156:157], v[38:39]
	v_mul_f64 v[106:107], v[156:157], v[36:37]
	v_add_f64 v[156:157], v[80:81], v[90:91]
	v_add_f64 v[80:81], v[80:81], -v[90:91]
	v_add_f64 v[90:91], v[52:53], -v[72:73]
	;; [unrolled: 1-line block ×4, first 2 shown]
	v_add_f64 v[64:65], v[88:89], v[64:65]
	v_fma_f64 v[36:37], v[154:155], v[36:37], v[104:105]
	v_add_f64 v[104:105], v[58:59], v[70:71]
	v_fma_f64 v[38:39], v[154:155], v[38:39], -v[106:107]
	v_add_f64 v[106:107], v[202:203], v[144:145]
	v_add_f64 v[154:155], v[78:79], v[92:93]
	v_add_f64 v[144:145], v[202:203], -v[144:145]
	v_add_f64 v[174:175], v[156:157], v[152:153]
	v_add_f64 v[58:59], v[58:59], -v[70:71]
	v_add_f64 v[70:71], v[84:85], -v[109:110]
	;; [unrolled: 1-line block ×4, first 2 shown]
	v_add_f64 v[92:93], v[46:47], v[140:141]
	v_add_f64 v[84:85], v[96:97], -v[84:85]
	v_add_f64 v[48:49], v[40:41], v[36:37]
	v_add_f64 v[36:37], v[36:37], -v[40:41]
	v_add_f64 v[50:51], v[42:43], v[38:39]
	v_add_f64 v[170:171], v[106:107], v[104:105]
	;; [unrolled: 1-line block ×4, first 2 shown]
	v_add_f64 v[38:39], v[38:39], -v[42:43]
	v_add_f64 v[42:43], v[44:45], v[144:145]
	v_add_f64 v[74:75], v[74:75], -v[66:67]
	v_add_f64 v[96:97], v[106:107], -v[104:105]
	;; [unrolled: 1-line block ×4, first 2 shown]
	v_mul_f64 v[70:71], v[70:71], s[10:11]
	v_add_f64 v[88:89], v[44:45], -v[144:145]
	v_add_f64 v[144:145], v[144:145], -v[58:59]
	;; [unrolled: 1-line block ×4, first 2 shown]
	v_add_f64 v[174:175], v[48:49], v[174:175]
	v_add_f64 v[170:171], v[102:103], v[170:171]
	;; [unrolled: 1-line block ×3, first 2 shown]
	v_add_f64 v[102:103], v[102:103], -v[106:107]
	v_add_f64 v[106:107], v[142:143], -v[160:161]
	;; [unrolled: 1-line block ×8, first 2 shown]
	v_mul_f64 v[160:161], v[109:110], s[2:3]
	v_add_f64 v[50:51], v[50:51], -v[158:159]
	v_mul_f64 v[158:159], v[100:101], s[2:3]
	v_add_f64 v[40:41], v[40:41], v[66:67]
	v_mul_f64 v[66:67], v[90:91], s[14:15]
	v_add_f64 v[90:91], v[46:47], -v[140:141]
	v_add_f64 v[46:47], v[56:57], -v[46:47]
	;; [unrolled: 1-line block ×3, first 2 shown]
	v_add_f64 v[42:43], v[42:43], v[58:59]
	v_mul_f64 v[58:59], v[72:73], s[12:13]
	v_add_f64 v[56:57], v[92:93], v[56:57]
	v_mul_f64 v[92:93], v[74:75], s[12:13]
	v_fma_f64 v[109:110], v[109:110], s[2:3], v[70:71]
	v_fma_f64 v[70:71], v[84:85], s[18:19], -v[70:71]
	v_mul_f64 v[88:89], v[88:89], s[14:15]
	v_add_f64 v[32:33], v[32:33], v[174:175]
	v_add_f64 v[28:29], v[28:29], v[170:171]
	;; [unrolled: 1-line block ×3, first 2 shown]
	v_mul_f64 v[152:153], v[152:153], s[10:11]
	v_mul_f64 v[154:155], v[154:155], s[10:11]
	v_fma_f64 v[160:161], v[84:85], s[16:17], -v[160:161]
	v_fma_f64 v[84:85], v[100:101], s[2:3], v[68:69]
	v_fma_f64 v[100:101], v[86:87], s[16:17], -v[158:159]
	v_fma_f64 v[68:69], v[86:87], s[18:19], -v[68:69]
	v_mul_f64 v[86:87], v[98:99], s[10:11]
	v_mul_f64 v[98:99], v[102:103], s[2:3]
	;; [unrolled: 1-line block ×3, first 2 shown]
	v_fma_f64 v[72:73], v[72:73], s[12:13], -v[66:67]
	v_fma_f64 v[66:67], v[52:53], s[20:21], v[66:67]
	v_mul_f64 v[90:91], v[90:91], s[14:15]
	v_fma_f64 v[52:53], v[52:53], s[22:23], -v[58:59]
	v_fma_f64 v[58:59], v[74:75], s[12:13], -v[94:95]
	v_fma_f64 v[74:75], v[54:55], s[20:21], v[94:95]
	v_fma_f64 v[54:55], v[54:55], s[22:23], -v[92:93]
	v_mul_f64 v[92:93], v[140:141], s[12:13]
	v_mul_f64 v[94:95], v[106:107], s[10:11]
	;; [unrolled: 1-line block ×3, first 2 shown]
	v_add_f64 v[70:71], v[70:71], v[162:163]
	v_fma_f64 v[174:175], v[174:175], s[24:25], v[32:33]
	v_fma_f64 v[170:171], v[170:171], s[24:25], v[28:29]
	;; [unrolled: 1-line block ×3, first 2 shown]
	v_add_f64 v[84:85], v[84:85], v[168:169]
	v_add_f64 v[100:101], v[100:101], v[168:169]
	;; [unrolled: 1-line block ×3, first 2 shown]
	v_fma_f64 v[102:103], v[102:103], s[2:3], v[86:87]
	v_fma_f64 v[98:99], v[96:97], s[16:17], -v[98:99]
	v_fma_f64 v[86:87], v[96:97], s[18:19], -v[86:87]
	;; [unrolled: 1-line block ×3, first 2 shown]
	v_fma_f64 v[88:89], v[44:45], s[20:21], v[88:89]
	v_fma_f64 v[44:45], v[44:45], s[22:23], -v[158:159]
	v_add_f64 v[144:145], v[36:37], -v[80:81]
	v_add_f64 v[158:159], v[36:37], v[80:81]
	v_add_f64 v[80:81], v[80:81], -v[76:77]
	v_fma_f64 v[140:141], v[140:141], s[12:13], -v[90:91]
	v_fma_f64 v[90:91], v[46:47], s[20:21], v[90:91]
	v_fma_f64 v[46:47], v[46:47], s[22:23], -v[92:93]
	v_fma_f64 v[92:93], v[142:143], s[2:3], v[94:95]
	v_fma_f64 v[106:107], v[104:105], s[16:17], -v[106:107]
	v_fma_f64 v[94:95], v[104:105], s[18:19], -v[94:95]
	v_add_f64 v[104:105], v[38:39], -v[82:83]
	v_add_f64 v[142:143], v[38:39], v[82:83]
	v_add_f64 v[82:83], v[82:83], -v[78:79]
	v_add_f64 v[36:37], v[76:77], -v[36:37]
	;; [unrolled: 1-line block ×3, first 2 shown]
	v_fma_f64 v[66:67], v[64:65], s[26:27], v[66:67]
	v_fma_f64 v[72:73], v[64:65], s[26:27], v[72:73]
	;; [unrolled: 1-line block ×4, first 2 shown]
	v_add_f64 v[58:59], v[109:110], v[162:163]
	v_add_f64 v[109:110], v[160:161], v[162:163]
	v_fma_f64 v[74:75], v[40:41], s[26:27], v[74:75]
	v_fma_f64 v[54:55], v[40:41], s[26:27], v[54:55]
	v_add_f64 v[102:103], v[102:103], v[170:171]
	v_add_f64 v[98:99], v[98:99], v[170:171]
	;; [unrolled: 1-line block ×3, first 2 shown]
	v_fma_f64 v[96:97], v[42:43], s[26:27], v[96:97]
	v_fma_f64 v[88:89], v[42:43], s[26:27], v[88:89]
	v_mul_f64 v[144:145], v[144:145], s[14:15]
	v_add_f64 v[76:77], v[158:159], v[76:77]
	v_mul_f64 v[158:159], v[80:81], s[12:13]
	v_fma_f64 v[140:141], v[56:57], s[26:27], v[140:141]
	v_fma_f64 v[90:91], v[56:57], s[26:27], v[90:91]
	v_add_f64 v[92:93], v[92:93], v[172:173]
	v_add_f64 v[106:107], v[106:107], v[172:173]
	;; [unrolled: 1-line block ×3, first 2 shown]
	v_mul_f64 v[104:105], v[104:105], s[14:15]
	v_add_f64 v[78:79], v[142:143], v[78:79]
	v_mul_f64 v[142:143], v[82:83], s[12:13]
	v_add_f64 v[40:41], v[54:55], v[70:71]
	v_fma_f64 v[80:81], v[80:81], s[12:13], -v[144:145]
	v_fma_f64 v[144:145], v[36:37], s[20:21], v[144:145]
	v_fma_f64 v[36:37], v[36:37], s[22:23], -v[158:159]
	v_mul_f64 v[158:159], v[48:49], s[2:3]
	v_fma_f64 v[48:49], v[48:49], s[2:3], v[152:153]
	v_fma_f64 v[82:83], v[82:83], s[12:13], -v[104:105]
	v_fma_f64 v[104:105], v[38:39], s[20:21], v[104:105]
	v_fma_f64 v[38:39], v[38:39], s[22:23], -v[142:143]
	v_mul_f64 v[142:143], v[50:51], s[2:3]
	v_fma_f64 v[50:51], v[50:51], s[2:3], v[154:155]
	v_fma_f64 v[144:145], v[76:77], s[26:27], v[144:145]
	;; [unrolled: 1-line block ×3, first 2 shown]
	v_fma_f64 v[158:159], v[146:147], s[16:17], -v[158:159]
	v_fma_f64 v[146:147], v[146:147], s[18:19], -v[152:153]
	v_fma_f64 v[152:153], v[156:157], s[18:19], -v[154:155]
	v_fma_f64 v[154:155], v[42:43], s[26:27], v[44:45]
	v_add_f64 v[172:173], v[48:49], v[174:175]
	v_add_f64 v[44:45], v[109:110], -v[52:53]
	v_add_f64 v[48:49], v[52:53], v[109:110]
	scratch_load_b32 v109, off, off offset:1380 ; 4-byte Folded Reload
	v_fma_f64 v[170:171], v[78:79], s[26:27], v[38:39]
	v_add_f64 v[36:37], v[74:75], v[58:59]
	v_add_f64 v[38:39], v[84:85], -v[66:67]
	v_add_f64 v[42:43], v[68:69], -v[64:65]
	v_fma_f64 v[142:143], v[156:157], s[16:17], -v[142:143]
	v_fma_f64 v[156:157], v[56:57], s[26:27], v[46:47]
	v_add_f64 v[46:47], v[72:73], v[100:101]
	v_add_f64 v[178:179], v[50:51], v[176:177]
	v_add_f64 v[50:51], v[100:101], -v[72:73]
	v_add_f64 v[52:53], v[70:71], -v[54:55]
	v_add_f64 v[54:55], v[64:65], v[68:69]
	v_add_f64 v[56:57], v[58:59], -v[74:75]
	v_add_f64 v[58:59], v[66:67], v[84:85]
	v_add_f64 v[64:65], v[90:91], v[102:103]
	v_add_f64 v[66:67], v[92:93], -v[88:89]
	v_add_f64 v[72:73], v[98:99], -v[140:141]
	v_add_f64 v[74:75], v[96:97], v[106:107]
	v_fma_f64 v[160:161], v[78:79], s[26:27], v[104:105]
	v_fma_f64 v[104:105], v[76:77], s[26:27], v[80:81]
	;; [unrolled: 1-line block ×3, first 2 shown]
	v_add_f64 v[76:77], v[140:141], v[98:99]
	v_add_f64 v[78:79], v[106:107], -v[96:97]
	v_add_f64 v[84:85], v[102:103], -v[90:91]
	s_waitcnt vmcnt(0)
	ds_store_b128 v109, v[24:27]
	ds_store_b128 v109, v[36:39] offset:720
	ds_store_b128 v109, v[40:43] offset:1440
	;; [unrolled: 1-line block ×6, first 2 shown]
	scratch_load_b32 v24, off, off offset:1376 ; 4-byte Folded Reload
	v_add_f64 v[68:69], v[156:157], v[86:87]
	v_add_f64 v[70:71], v[94:95], -v[154:155]
	v_add_f64 v[80:81], v[86:87], -v[156:157]
	v_add_f64 v[82:83], v[154:155], v[94:95]
	v_add_f64 v[86:87], v[88:89], v[92:93]
	;; [unrolled: 1-line block ×7, first 2 shown]
	v_add_f64 v[90:91], v[178:179], -v[144:145]
	v_add_f64 v[140:141], v[172:173], -v[160:161]
	s_waitcnt vmcnt(0)
	ds_store_b128 v24, v[28:31]
	ds_store_b128 v24, v[64:67] offset:720
	ds_store_b128 v24, v[68:71] offset:1440
	;; [unrolled: 1-line block ×6, first 2 shown]
	scratch_load_b32 v24, off, off offset:1372 ; 4-byte Folded Reload
	v_add_f64 v[92:93], v[170:171], v[146:147]
	v_add_f64 v[94:95], v[152:153], -v[168:169]
	v_add_f64 v[96:97], v[158:159], -v[162:163]
	v_add_f64 v[98:99], v[104:105], v[142:143]
	v_add_f64 v[100:101], v[162:163], v[158:159]
	v_add_f64 v[102:103], v[142:143], -v[104:105]
	v_add_f64 v[104:105], v[146:147], -v[170:171]
	v_add_f64 v[106:107], v[168:169], v[152:153]
	v_add_f64 v[142:143], v[144:145], v[178:179]
	s_waitcnt vmcnt(0)
	ds_store_b128 v24, v[32:35]
	ds_store_b128 v24, v[88:91] offset:720
	ds_store_b128 v24, v[92:95] offset:1440
	;; [unrolled: 1-line block ×6, first 2 shown]
	s_and_saveexec_b32 s1, s0
	s_cbranch_execz .LBB0_29
; %bb.28:
	s_clause 0x5
	scratch_load_b128 v[64:67], off, off offset:1448
	scratch_load_b128 v[74:77], off, off offset:8
	;; [unrolled: 1-line block ×6, first 2 shown]
	s_waitcnt vmcnt(4)
	v_mul_f64 v[24:25], v[66:67], v[74:75]
	v_mul_f64 v[34:35], v[66:67], v[76:77]
	scratch_load_b128 v[66:69], off, off offset:1464 ; 16-byte Folded Reload
	s_waitcnt vmcnt(4)
	v_mul_f64 v[26:27], v[50:51], v[12:13]
	s_waitcnt vmcnt(2)
	v_mul_f64 v[28:29], v[58:59], v[4:5]
	v_mul_f64 v[30:31], v[54:55], v[16:17]
	v_mul_f64 v[32:33], v[50:51], v[14:15]
	v_mul_f64 v[36:37], v[54:55], v[18:19]
	v_mul_f64 v[38:39], v[58:59], v[6:7]
	s_waitcnt vmcnt(1)
	v_mul_f64 v[40:41], v[72:73], v[2:3]
	v_mul_f64 v[46:47], v[72:73], v[0:1]
	v_fma_f64 v[24:25], v[64:65], v[76:77], -v[24:25]
	v_fma_f64 v[14:15], v[48:49], v[14:15], -v[26:27]
	;; [unrolled: 1-line block ×4, first 2 shown]
	v_fma_f64 v[12:13], v[48:49], v[12:13], v[32:33]
	v_fma_f64 v[26:27], v[64:65], v[74:75], v[34:35]
	;; [unrolled: 1-line block ×5, first 2 shown]
	v_fma_f64 v[2:3], v[70:71], v[2:3], -v[46:47]
	v_add_f64 v[28:29], v[14:15], v[24:25]
	v_add_f64 v[14:15], v[14:15], -v[24:25]
	v_add_f64 v[30:31], v[18:19], v[6:7]
	v_add_f64 v[6:7], v[18:19], -v[6:7]
	v_add_f64 v[32:33], v[12:13], v[26:27]
	v_add_f64 v[12:13], v[12:13], -v[26:27]
	v_add_f64 v[34:35], v[16:17], v[4:5]
	v_add_f64 v[4:5], v[16:17], -v[4:5]
	s_delay_alu instid0(VALU_DEP_2) | instskip(NEXT) | instid1(VALU_DEP_2)
	v_add_f64 v[18:19], v[34:35], v[32:33]
	v_add_f64 v[38:39], v[4:5], -v[12:13]
	s_waitcnt vmcnt(0)
	v_mul_f64 v[42:43], v[68:69], v[22:23]
	v_mul_f64 v[44:45], v[68:69], v[20:21]
	s_delay_alu instid0(VALU_DEP_2) | instskip(NEXT) | instid1(VALU_DEP_2)
	v_fma_f64 v[20:21], v[66:67], v[20:21], v[42:43]
	v_fma_f64 v[22:23], v[66:67], v[22:23], -v[44:45]
	v_add_f64 v[42:43], v[6:7], -v[14:15]
	s_delay_alu instid0(VALU_DEP_3) | instskip(NEXT) | instid1(VALU_DEP_3)
	v_add_f64 v[36:37], v[0:1], -v[20:21]
	v_add_f64 v[16:17], v[22:23], v[2:3]
	v_add_f64 v[0:1], v[20:21], v[0:1]
	;; [unrolled: 1-line block ×3, first 2 shown]
	v_add_f64 v[2:3], v[2:3], -v[22:23]
	v_add_f64 v[22:23], v[36:37], -v[4:5]
	;; [unrolled: 1-line block ×4, first 2 shown]
	v_add_f64 v[20:21], v[16:17], v[20:21]
	v_add_f64 v[16:17], v[16:17], -v[30:31]
	v_add_f64 v[40:41], v[2:3], -v[6:7]
	v_add_f64 v[18:19], v[0:1], v[18:19]
	v_add_f64 v[44:45], v[0:1], -v[34:35]
	v_add_f64 v[46:47], v[12:13], -v[36:37]
	v_add_f64 v[4:5], v[36:37], v[4:5]
	v_add_f64 v[6:7], v[2:3], v[6:7]
	v_mul_f64 v[36:37], v[38:39], s[12:13]
	v_add_f64 v[48:49], v[14:15], -v[2:3]
	v_mul_f64 v[22:23], v[22:23], s[14:15]
	v_mul_f64 v[24:25], v[24:25], s[10:11]
	;; [unrolled: 1-line block ×3, first 2 shown]
	v_add_f64 v[2:3], v[10:11], v[20:21]
	v_add_f64 v[10:11], v[30:31], -v[28:29]
	v_mul_f64 v[28:29], v[16:17], s[2:3]
	v_mul_f64 v[30:31], v[40:41], s[14:15]
	v_add_f64 v[0:1], v[8:9], v[18:19]
	v_add_f64 v[8:9], v[34:35], -v[32:33]
	v_mul_f64 v[32:33], v[44:45], s[2:3]
	v_add_f64 v[4:5], v[4:5], v[12:13]
	v_add_f64 v[6:7], v[6:7], v[14:15]
	v_fma_f64 v[34:35], v[46:47], s[22:23], -v[36:37]
	v_mul_f64 v[40:41], v[42:43], s[12:13]
	v_fma_f64 v[12:13], v[46:47], s[20:21], v[22:23]
	v_fma_f64 v[14:15], v[16:17], s[2:3], v[24:25]
	;; [unrolled: 1-line block ×3, first 2 shown]
	v_fma_f64 v[22:23], v[38:39], s[12:13], -v[22:23]
	v_fma_f64 v[20:21], v[20:21], s[24:25], v[2:3]
	v_fma_f64 v[24:25], v[10:11], s[18:19], -v[24:25]
	v_fma_f64 v[10:11], v[10:11], s[16:17], -v[28:29]
	v_fma_f64 v[28:29], v[48:49], s[20:21], v[30:31]
	v_fma_f64 v[18:19], v[18:19], s[24:25], v[0:1]
	v_fma_f64 v[26:27], v[8:9], s[18:19], -v[26:27]
	v_fma_f64 v[8:9], v[8:9], s[16:17], -v[32:33]
	;; [unrolled: 1-line block ×3, first 2 shown]
	v_fma_f64 v[32:33], v[4:5], s[26:27], v[34:35]
	v_fma_f64 v[36:37], v[48:49], s[22:23], -v[40:41]
	v_fma_f64 v[12:13], v[4:5], s[26:27], v[12:13]
	v_fma_f64 v[4:5], v[4:5], s[26:27], v[22:23]
	v_add_f64 v[34:35], v[14:15], v[20:21]
	v_add_f64 v[22:23], v[24:25], v[20:21]
	;; [unrolled: 1-line block ×3, first 2 shown]
	v_fma_f64 v[28:29], v[6:7], s[26:27], v[28:29]
	v_add_f64 v[38:39], v[16:17], v[18:19]
	v_add_f64 v[40:41], v[26:27], v[18:19]
	;; [unrolled: 1-line block ×3, first 2 shown]
	v_fma_f64 v[30:31], v[6:7], s[26:27], v[30:31]
	v_fma_f64 v[36:37], v[6:7], s[26:27], v[36:37]
	v_add_f64 v[26:27], v[34:35], -v[12:13]
	v_add_f64 v[10:11], v[32:33], v[22:23]
	v_add_f64 v[14:15], v[20:21], -v[4:5]
	v_add_f64 v[18:19], v[4:5], v[20:21]
	v_add_f64 v[24:25], v[28:29], v[38:39]
	v_add_f64 v[4:5], v[38:39], -v[28:29]
	scratch_load_b32 v28, off, off offset:640 ; 4-byte Folded Reload
	v_add_f64 v[22:23], v[22:23], -v[32:33]
	v_add_f64 v[16:17], v[8:9], -v[30:31]
	v_add_f64 v[20:21], v[36:37], v[40:41]
	v_add_f64 v[6:7], v[12:13], v[34:35]
	;; [unrolled: 1-line block ×3, first 2 shown]
	v_add_f64 v[8:9], v[40:41], -v[36:37]
	s_waitcnt vmcnt(0)
	v_lshlrev_b32_e32 v28, 4, v28
	ds_store_b128 v28, v[0:3] offset:20160
	ds_store_b128 v28, v[24:27] offset:20880
	;; [unrolled: 1-line block ×7, first 2 shown]
.LBB0_29:
	s_or_b32 exec_lo, exec_lo, s1
	s_waitcnt lgkmcnt(0)
	s_barrier
	buffer_gl0_inv
	ds_load_b128 v[4:7], v108 offset:10080
	ds_load_b128 v[0:3], v108 offset:11088
	s_mov_b32 s10, 0x134454ff
	s_mov_b32 s11, 0xbfee6f0e
	;; [unrolled: 1-line block ×10, first 2 shown]
	s_waitcnt lgkmcnt(1)
	v_mul_f64 v[8:9], v[62:63], v[6:7]
	s_delay_alu instid0(VALU_DEP_1) | instskip(SKIP_1) | instid1(VALU_DEP_1)
	v_fma_f64 v[12:13], v[60:61], v[4:5], v[8:9]
	v_mul_f64 v[4:5], v[62:63], v[4:5]
	v_fma_f64 v[14:15], v[60:61], v[6:7], -v[4:5]
	ds_load_b128 v[8:11], v108 offset:15120
	ds_load_b128 v[4:7], v108 offset:14112
	s_waitcnt lgkmcnt(1)
	v_mul_f64 v[16:17], v[150:151], v[10:11]
	s_delay_alu instid0(VALU_DEP_1) | instskip(SKIP_1) | instid1(VALU_DEP_1)
	v_fma_f64 v[18:19], v[148:149], v[8:9], v[16:17]
	v_mul_f64 v[8:9], v[150:151], v[8:9]
	v_fma_f64 v[16:17], v[148:149], v[10:11], -v[8:9]
	ds_load_b128 v[8:11], v108 offset:5040
	ds_load_b128 v[20:23], v108 offset:4032
	scratch_load_b128 v[26:29], off, off offset:652 ; 16-byte Folded Reload
	s_waitcnt vmcnt(0) lgkmcnt(1)
	v_mul_f64 v[24:25], v[28:29], v[10:11]
	s_delay_alu instid0(VALU_DEP_1) | instskip(SKIP_1) | instid1(VALU_DEP_1)
	v_fma_f64 v[32:33], v[26:27], v[8:9], v[24:25]
	v_mul_f64 v[8:9], v[28:29], v[8:9]
	v_fma_f64 v[34:35], v[26:27], v[10:11], -v[8:9]
	ds_load_b128 v[8:11], v108 offset:20160
	ds_load_b128 v[24:27], v108 offset:21168
	scratch_load_b128 v[38:41], off, off offset:824 ; 16-byte Folded Reload
	s_waitcnt vmcnt(0) lgkmcnt(1)
	v_mul_f64 v[28:29], v[40:41], v[10:11]
	s_delay_alu instid0(VALU_DEP_1) | instskip(SKIP_1) | instid1(VALU_DEP_2)
	v_fma_f64 v[36:37], v[38:39], v[8:9], v[28:29]
	v_mul_f64 v[8:9], v[40:41], v[8:9]
	v_add_f64 v[109:110], v[32:33], -v[36:37]
	s_delay_alu instid0(VALU_DEP_2)
	v_fma_f64 v[38:39], v[38:39], v[10:11], -v[8:9]
	ds_load_b128 v[8:11], v108 offset:6048
	ds_load_b128 v[28:31], v108 offset:7056
	s_clause 0x1
	scratch_load_b128 v[42:45], off, off offset:712
	scratch_load_b128 v[46:49], off, off offset:776
	s_waitcnt vmcnt(1) lgkmcnt(1)
	v_mul_f64 v[40:41], v[44:45], v[10:11]
	s_delay_alu instid0(VALU_DEP_1) | instskip(SKIP_1) | instid1(VALU_DEP_1)
	v_fma_f64 v[40:41], v[42:43], v[8:9], v[40:41]
	v_mul_f64 v[8:9], v[44:45], v[8:9]
	v_fma_f64 v[42:43], v[42:43], v[10:11], -v[8:9]
	s_waitcnt vmcnt(0)
	v_mul_f64 v[8:9], v[48:49], v[2:3]
	s_delay_alu instid0(VALU_DEP_1) | instskip(SKIP_1) | instid1(VALU_DEP_1)
	v_fma_f64 v[44:45], v[46:47], v[0:1], v[8:9]
	v_mul_f64 v[0:1], v[48:49], v[0:1]
	v_fma_f64 v[46:47], v[46:47], v[2:3], -v[0:1]
	ds_load_b128 v[0:3], v108 offset:16128
	ds_load_b128 v[8:11], v108 offset:17136
	s_clause 0x1
	scratch_load_b128 v[50:53], off, off offset:808
	scratch_load_b128 v[54:57], off, off offset:792
	s_waitcnt vmcnt(1) lgkmcnt(1)
	v_mul_f64 v[48:49], v[52:53], v[2:3]
	s_delay_alu instid0(VALU_DEP_1) | instskip(SKIP_1) | instid1(VALU_DEP_1)
	v_fma_f64 v[48:49], v[50:51], v[0:1], v[48:49]
	v_mul_f64 v[0:1], v[52:53], v[0:1]
	v_fma_f64 v[50:51], v[50:51], v[2:3], -v[0:1]
	s_waitcnt vmcnt(0)
	v_mul_f64 v[0:1], v[56:57], v[26:27]
	s_delay_alu instid0(VALU_DEP_1) | instskip(SKIP_1) | instid1(VALU_DEP_1)
	v_fma_f64 v[52:53], v[54:55], v[24:25], v[0:1]
	v_mul_f64 v[0:1], v[56:57], v[24:25]
	v_fma_f64 v[54:55], v[54:55], v[26:27], -v[0:1]
	scratch_load_b128 v[24:27], off, off offset:692 ; 16-byte Folded Reload
	s_waitcnt vmcnt(0)
	v_mul_f64 v[0:1], v[26:27], v[30:31]
	s_delay_alu instid0(VALU_DEP_1) | instskip(SKIP_1) | instid1(VALU_DEP_1)
	v_fma_f64 v[60:61], v[24:25], v[28:29], v[0:1]
	v_mul_f64 v[0:1], v[26:27], v[28:29]
	v_fma_f64 v[62:63], v[24:25], v[30:31], -v[0:1]
	ds_load_b128 v[0:3], v108 offset:12096
	ds_load_b128 v[24:27], v108 offset:13104
	scratch_load_b128 v[56:59], off, off offset:760 ; 16-byte Folded Reload
	s_waitcnt vmcnt(0) lgkmcnt(1)
	v_mul_f64 v[28:29], v[58:59], v[2:3]
	s_delay_alu instid0(VALU_DEP_1) | instskip(SKIP_2) | instid1(VALU_DEP_1)
	v_fma_f64 v[64:65], v[56:57], v[0:1], v[28:29]
	scratch_load_b128 v[28:31], off, off offset:744 ; 16-byte Folded Reload
	v_mul_f64 v[0:1], v[58:59], v[0:1]
	v_fma_f64 v[66:67], v[56:57], v[2:3], -v[0:1]
	s_waitcnt vmcnt(0)
	v_mul_f64 v[0:1], v[30:31], v[10:11]
	s_delay_alu instid0(VALU_DEP_1) | instskip(SKIP_1) | instid1(VALU_DEP_1)
	v_fma_f64 v[68:69], v[28:29], v[8:9], v[0:1]
	v_mul_f64 v[0:1], v[30:31], v[8:9]
	v_fma_f64 v[70:71], v[28:29], v[10:11], -v[0:1]
	ds_load_b128 v[0:3], v108 offset:22176
	ds_load_b128 v[8:11], v108 offset:23184
	scratch_load_b128 v[56:59], off, off offset:728 ; 16-byte Folded Reload
	s_waitcnt vmcnt(0) lgkmcnt(1)
	v_mul_f64 v[28:29], v[58:59], v[2:3]
	s_delay_alu instid0(VALU_DEP_1) | instskip(SKIP_2) | instid1(VALU_DEP_2)
	v_fma_f64 v[72:73], v[56:57], v[0:1], v[28:29]
	v_mul_f64 v[0:1], v[58:59], v[0:1]
	v_add_f64 v[58:59], v[14:15], -v[16:17]
	v_fma_f64 v[74:75], v[56:57], v[2:3], -v[0:1]
	ds_load_b128 v[0:3], v108 offset:8064
	ds_load_b128 v[28:31], v108 offset:9072
	s_waitcnt lgkmcnt(1)
	v_mul_f64 v[56:57], v[122:123], v[2:3]
	s_delay_alu instid0(VALU_DEP_1) | instskip(SKIP_1) | instid1(VALU_DEP_1)
	v_fma_f64 v[76:77], v[120:121], v[0:1], v[56:57]
	v_mul_f64 v[0:1], v[122:123], v[0:1]
	v_fma_f64 v[78:79], v[120:121], v[2:3], -v[0:1]
	v_mul_f64 v[0:1], v[130:131], v[26:27]
	s_delay_alu instid0(VALU_DEP_1) | instskip(SKIP_1) | instid1(VALU_DEP_1)
	v_fma_f64 v[80:81], v[128:129], v[24:25], v[0:1]
	v_mul_f64 v[0:1], v[130:131], v[24:25]
	v_fma_f64 v[82:83], v[128:129], v[26:27], -v[0:1]
	ds_load_b128 v[0:3], v108 offset:18144
	ds_load_b128 v[24:27], v108 offset:19152
	s_waitcnt lgkmcnt(1)
	v_mul_f64 v[56:57], v[118:119], v[2:3]
	s_delay_alu instid0(VALU_DEP_1) | instskip(SKIP_3) | instid1(VALU_DEP_3)
	v_fma_f64 v[84:85], v[116:117], v[0:1], v[56:57]
	v_mul_f64 v[0:1], v[118:119], v[0:1]
	v_add_f64 v[56:57], v[34:35], -v[38:39]
	v_add_f64 v[119:120], v[64:65], -v[68:69]
	v_fma_f64 v[86:87], v[116:117], v[2:3], -v[0:1]
	v_mul_f64 v[0:1], v[114:115], v[10:11]
	v_add_f64 v[117:118], v[60:61], -v[72:73]
	s_delay_alu instid0(VALU_DEP_2) | instskip(SKIP_3) | instid1(VALU_DEP_3)
	v_fma_f64 v[88:89], v[112:113], v[8:9], v[0:1]
	v_mul_f64 v[0:1], v[114:115], v[8:9]
	v_add_f64 v[8:9], v[12:13], v[18:19]
	v_add_f64 v[115:116], v[66:67], -v[70:71]
	v_fma_f64 v[90:91], v[112:113], v[10:11], -v[0:1]
	v_mul_f64 v[0:1], v[138:139], v[30:31]
	v_add_f64 v[111:112], v[12:13], -v[18:19]
	v_add_f64 v[113:114], v[62:63], -v[74:75]
	s_delay_alu instid0(VALU_DEP_3) | instskip(SKIP_1) | instid1(VALU_DEP_1)
	v_fma_f64 v[92:93], v[136:137], v[28:29], v[0:1]
	v_mul_f64 v[0:1], v[138:139], v[28:29]
	v_fma_f64 v[94:95], v[136:137], v[30:31], -v[0:1]
	v_mul_f64 v[0:1], v[166:167], v[6:7]
	s_delay_alu instid0(VALU_DEP_1) | instskip(SKIP_1) | instid1(VALU_DEP_1)
	v_fma_f64 v[96:97], v[164:165], v[4:5], v[0:1]
	v_mul_f64 v[0:1], v[166:167], v[4:5]
	v_fma_f64 v[98:99], v[164:165], v[6:7], -v[0:1]
	s_waitcnt lgkmcnt(0)
	v_mul_f64 v[0:1], v[134:135], v[26:27]
	s_delay_alu instid0(VALU_DEP_1) | instskip(SKIP_1) | instid1(VALU_DEP_1)
	v_fma_f64 v[100:101], v[132:133], v[24:25], v[0:1]
	v_mul_f64 v[0:1], v[134:135], v[24:25]
	v_fma_f64 v[102:103], v[132:133], v[26:27], -v[0:1]
	ds_load_b128 v[0:3], v108 offset:24192
	s_waitcnt lgkmcnt(0)
	v_mul_f64 v[4:5], v[126:127], v[2:3]
	s_delay_alu instid0(VALU_DEP_1) | instskip(SKIP_1) | instid1(VALU_DEP_1)
	v_fma_f64 v[104:105], v[124:125], v[0:1], v[4:5]
	v_mul_f64 v[0:1], v[126:127], v[0:1]
	v_fma_f64 v[106:107], v[124:125], v[2:3], -v[0:1]
	v_add_f64 v[0:1], v[32:33], -v[12:13]
	v_add_f64 v[2:3], v[36:37], -v[18:19]
	s_delay_alu instid0(VALU_DEP_1) | instskip(SKIP_2) | instid1(VALU_DEP_1)
	v_add_f64 v[24:25], v[0:1], v[2:3]
	v_add_f64 v[0:1], v[34:35], -v[14:15]
	v_add_f64 v[2:3], v[38:39], -v[16:17]
	v_add_f64 v[26:27], v[0:1], v[2:3]
	ds_load_b128 v[0:3], v108
	ds_load_b128 v[4:7], v108 offset:1008
	s_waitcnt lgkmcnt(1)
	v_fma_f64 v[28:29], v[8:9], -0.5, v[0:1]
	v_add_f64 v[8:9], v[14:15], v[16:17]
	s_delay_alu instid0(VALU_DEP_1) | instskip(NEXT) | instid1(VALU_DEP_3)
	v_fma_f64 v[30:31], v[8:9], -0.5, v[2:3]
	v_fma_f64 v[8:9], v[56:57], s[10:11], v[28:29]
	v_fma_f64 v[28:29], v[56:57], s[12:13], v[28:29]
	s_delay_alu instid0(VALU_DEP_3) | instskip(SKIP_1) | instid1(VALU_DEP_4)
	v_fma_f64 v[10:11], v[109:110], s[12:13], v[30:31]
	v_fma_f64 v[30:31], v[109:110], s[10:11], v[30:31]
	;; [unrolled: 1-line block ×3, first 2 shown]
	s_delay_alu instid0(VALU_DEP_4) | instskip(NEXT) | instid1(VALU_DEP_4)
	v_fma_f64 v[28:29], v[58:59], s[2:3], v[28:29]
	v_fma_f64 v[10:11], v[111:112], s[2:3], v[10:11]
	s_delay_alu instid0(VALU_DEP_4) | instskip(NEXT) | instid1(VALU_DEP_4)
	v_fma_f64 v[30:31], v[111:112], s[0:1], v[30:31]
	v_fma_f64 v[8:9], v[24:25], s[14:15], v[8:9]
	s_delay_alu instid0(VALU_DEP_4) | instskip(SKIP_4) | instid1(VALU_DEP_4)
	v_fma_f64 v[24:25], v[24:25], s[14:15], v[28:29]
	v_add_f64 v[28:29], v[32:33], v[36:37]
	v_fma_f64 v[10:11], v[26:27], s[14:15], v[10:11]
	v_fma_f64 v[26:27], v[26:27], s[14:15], v[30:31]
	v_add_f64 v[30:31], v[34:35], v[38:39]
	v_fma_f64 v[28:29], v[28:29], -0.5, v[0:1]
	v_add_f64 v[0:1], v[0:1], v[32:33]
	v_add_f64 v[32:33], v[12:13], -v[32:33]
	s_delay_alu instid0(VALU_DEP_4) | instskip(SKIP_1) | instid1(VALU_DEP_4)
	v_fma_f64 v[30:31], v[30:31], -0.5, v[2:3]
	v_add_f64 v[2:3], v[2:3], v[34:35]
	v_add_f64 v[0:1], v[0:1], v[12:13]
	v_add_f64 v[12:13], v[14:15], -v[34:35]
	s_delay_alu instid0(VALU_DEP_4) | instskip(NEXT) | instid1(VALU_DEP_4)
	v_fma_f64 v[34:35], v[111:112], s[10:11], v[30:31]
	v_add_f64 v[2:3], v[2:3], v[14:15]
	v_add_f64 v[14:15], v[18:19], -v[36:37]
	v_add_f64 v[0:1], v[0:1], v[18:19]
	v_fma_f64 v[18:19], v[58:59], s[12:13], v[28:29]
	v_fma_f64 v[28:29], v[58:59], s[10:11], v[28:29]
	;; [unrolled: 1-line block ×3, first 2 shown]
	v_add_f64 v[58:59], v[46:47], -v[50:51]
	v_add_f64 v[111:112], v[44:45], -v[48:49]
	v_add_f64 v[2:3], v[2:3], v[16:17]
	v_add_f64 v[16:17], v[16:17], -v[38:39]
	v_add_f64 v[0:1], v[0:1], v[36:37]
	v_add_f64 v[32:33], v[32:33], v[14:15]
	v_fma_f64 v[14:15], v[109:110], s[2:3], v[34:35]
	v_add_f64 v[2:3], v[2:3], v[38:39]
	v_add_f64 v[36:37], v[12:13], v[16:17]
	v_fma_f64 v[12:13], v[56:57], s[0:1], v[18:19]
	v_fma_f64 v[16:17], v[56:57], s[2:3], v[28:29]
	;; [unrolled: 1-line block ×3, first 2 shown]
	v_add_f64 v[28:29], v[40:41], -v[44:45]
	v_add_f64 v[30:31], v[52:53], -v[48:49]
	;; [unrolled: 1-line block ×4, first 2 shown]
	v_fma_f64 v[14:15], v[36:37], s[14:15], v[14:15]
	v_fma_f64 v[12:13], v[32:33], s[14:15], v[12:13]
	v_fma_f64 v[16:17], v[32:33], s[14:15], v[16:17]
	v_fma_f64 v[18:19], v[36:37], s[14:15], v[18:19]
	v_add_f64 v[32:33], v[28:29], v[30:31]
	v_add_f64 v[28:29], v[42:43], -v[46:47]
	v_add_f64 v[30:31], v[54:55], -v[50:51]
	s_delay_alu instid0(VALU_DEP_1) | instskip(SKIP_2) | instid1(VALU_DEP_1)
	v_add_f64 v[34:35], v[28:29], v[30:31]
	v_add_f64 v[28:29], v[44:45], v[48:49]
	s_waitcnt lgkmcnt(0)
	v_fma_f64 v[36:37], v[28:29], -0.5, v[4:5]
	v_add_f64 v[28:29], v[46:47], v[50:51]
	s_delay_alu instid0(VALU_DEP_1) | instskip(NEXT) | instid1(VALU_DEP_3)
	v_fma_f64 v[38:39], v[28:29], -0.5, v[6:7]
	v_fma_f64 v[28:29], v[56:57], s[10:11], v[36:37]
	v_fma_f64 v[36:37], v[56:57], s[12:13], v[36:37]
	s_delay_alu instid0(VALU_DEP_3) | instskip(NEXT) | instid1(VALU_DEP_3)
	v_fma_f64 v[30:31], v[109:110], s[12:13], v[38:39]
	v_fma_f64 v[28:29], v[58:59], s[0:1], v[28:29]
	;; [unrolled: 1-line block ×3, first 2 shown]
	s_delay_alu instid0(VALU_DEP_4) | instskip(NEXT) | instid1(VALU_DEP_4)
	v_fma_f64 v[36:37], v[58:59], s[2:3], v[36:37]
	v_fma_f64 v[30:31], v[111:112], s[2:3], v[30:31]
	s_delay_alu instid0(VALU_DEP_4) | instskip(NEXT) | instid1(VALU_DEP_4)
	v_fma_f64 v[28:29], v[32:33], s[14:15], v[28:29]
	v_fma_f64 v[38:39], v[111:112], s[0:1], v[38:39]
	s_delay_alu instid0(VALU_DEP_4) | instskip(SKIP_2) | instid1(VALU_DEP_4)
	v_fma_f64 v[32:33], v[32:33], s[14:15], v[36:37]
	v_add_f64 v[36:37], v[40:41], v[52:53]
	v_fma_f64 v[30:31], v[34:35], s[14:15], v[30:31]
	v_fma_f64 v[34:35], v[34:35], s[14:15], v[38:39]
	v_add_f64 v[38:39], v[42:43], v[54:55]
	s_delay_alu instid0(VALU_DEP_4) | instskip(SKIP_2) | instid1(VALU_DEP_4)
	v_fma_f64 v[36:37], v[36:37], -0.5, v[4:5]
	v_add_f64 v[4:5], v[4:5], v[40:41]
	v_add_f64 v[40:41], v[44:45], -v[40:41]
	v_fma_f64 v[38:39], v[38:39], -0.5, v[6:7]
	v_add_f64 v[6:7], v[6:7], v[42:43]
	s_delay_alu instid0(VALU_DEP_4) | instskip(SKIP_2) | instid1(VALU_DEP_4)
	v_add_f64 v[4:5], v[4:5], v[44:45]
	v_add_f64 v[42:43], v[46:47], -v[42:43]
	v_add_f64 v[44:45], v[48:49], -v[52:53]
	v_add_f64 v[6:7], v[6:7], v[46:47]
	s_delay_alu instid0(VALU_DEP_4)
	v_add_f64 v[4:5], v[4:5], v[48:49]
	v_add_f64 v[46:47], v[50:51], -v[54:55]
	v_fma_f64 v[48:49], v[58:59], s[12:13], v[36:37]
	v_fma_f64 v[36:37], v[58:59], s[10:11], v[36:37]
	v_add_f64 v[40:41], v[40:41], v[44:45]
	v_add_f64 v[6:7], v[6:7], v[50:51]
	v_fma_f64 v[50:51], v[111:112], s[10:11], v[38:39]
	v_add_f64 v[42:43], v[42:43], v[46:47]
	v_fma_f64 v[44:45], v[56:57], s[0:1], v[48:49]
	v_fma_f64 v[46:47], v[56:57], s[2:3], v[36:37]
	;; [unrolled: 1-line block ×3, first 2 shown]
	v_add_f64 v[4:5], v[4:5], v[52:53]
	v_add_f64 v[52:53], v[64:65], v[68:69]
	;; [unrolled: 1-line block ×3, first 2 shown]
	v_fma_f64 v[48:49], v[109:110], s[2:3], v[50:51]
	v_fma_f64 v[36:37], v[40:41], s[14:15], v[44:45]
	v_fma_f64 v[40:41], v[40:41], s[14:15], v[46:47]
	v_add_f64 v[44:45], v[60:61], -v[64:65]
	v_add_f64 v[46:47], v[72:73], -v[68:69]
	v_fma_f64 v[50:51], v[109:110], s[0:1], v[38:39]
	v_fma_f64 v[38:39], v[42:43], s[14:15], v[48:49]
	s_delay_alu instid0(VALU_DEP_3) | instskip(SKIP_3) | instid1(VALU_DEP_2)
	v_add_f64 v[56:57], v[44:45], v[46:47]
	v_add_f64 v[44:45], v[62:63], -v[66:67]
	v_add_f64 v[46:47], v[74:75], -v[70:71]
	v_fma_f64 v[42:43], v[42:43], s[14:15], v[50:51]
	v_add_f64 v[58:59], v[44:45], v[46:47]
	ds_load_b128 v[44:47], v108 offset:2016
	ds_load_b128 v[48:51], v108 offset:3024
	s_waitcnt lgkmcnt(1)
	v_fma_f64 v[109:110], v[52:53], -0.5, v[44:45]
	v_add_f64 v[52:53], v[66:67], v[70:71]
	s_delay_alu instid0(VALU_DEP_1) | instskip(NEXT) | instid1(VALU_DEP_3)
	v_fma_f64 v[111:112], v[52:53], -0.5, v[46:47]
	v_fma_f64 v[52:53], v[113:114], s[10:11], v[109:110]
	v_fma_f64 v[109:110], v[113:114], s[12:13], v[109:110]
	s_delay_alu instid0(VALU_DEP_3) | instskip(NEXT) | instid1(VALU_DEP_3)
	v_fma_f64 v[54:55], v[117:118], s[12:13], v[111:112]
	v_fma_f64 v[52:53], v[115:116], s[0:1], v[52:53]
	v_fma_f64 v[111:112], v[117:118], s[10:11], v[111:112]
	s_delay_alu instid0(VALU_DEP_4) | instskip(NEXT) | instid1(VALU_DEP_4)
	v_fma_f64 v[109:110], v[115:116], s[2:3], v[109:110]
	v_fma_f64 v[54:55], v[119:120], s[2:3], v[54:55]
	s_delay_alu instid0(VALU_DEP_4) | instskip(NEXT) | instid1(VALU_DEP_4)
	v_fma_f64 v[52:53], v[56:57], s[14:15], v[52:53]
	v_fma_f64 v[111:112], v[119:120], s[0:1], v[111:112]
	s_delay_alu instid0(VALU_DEP_4) | instskip(SKIP_2) | instid1(VALU_DEP_4)
	v_fma_f64 v[56:57], v[56:57], s[14:15], v[109:110]
	v_add_f64 v[109:110], v[60:61], v[72:73]
	v_fma_f64 v[54:55], v[58:59], s[14:15], v[54:55]
	v_fma_f64 v[58:59], v[58:59], s[14:15], v[111:112]
	v_add_f64 v[111:112], v[62:63], v[74:75]
	s_delay_alu instid0(VALU_DEP_4) | instskip(SKIP_2) | instid1(VALU_DEP_4)
	v_fma_f64 v[109:110], v[109:110], -0.5, v[44:45]
	v_add_f64 v[44:45], v[44:45], v[60:61]
	v_add_f64 v[60:61], v[64:65], -v[60:61]
	v_fma_f64 v[111:112], v[111:112], -0.5, v[46:47]
	v_add_f64 v[46:47], v[46:47], v[62:63]
	s_delay_alu instid0(VALU_DEP_4)
	v_add_f64 v[44:45], v[44:45], v[64:65]
	v_fma_f64 v[64:65], v[115:116], s[12:13], v[109:110]
	v_fma_f64 v[109:110], v[115:116], s[10:11], v[109:110]
	v_add_f64 v[62:63], v[66:67], -v[62:63]
	v_add_f64 v[115:116], v[82:83], -v[86:87]
	v_add_f64 v[46:47], v[46:47], v[66:67]
	v_add_f64 v[44:45], v[44:45], v[68:69]
	v_add_f64 v[66:67], v[68:69], -v[72:73]
	v_add_f64 v[68:69], v[70:71], -v[74:75]
	s_delay_alu instid0(VALU_DEP_4) | instskip(NEXT) | instid1(VALU_DEP_4)
	v_add_f64 v[46:47], v[46:47], v[70:71]
	v_add_f64 v[44:45], v[44:45], v[72:73]
	v_fma_f64 v[70:71], v[119:120], s[10:11], v[111:112]
	v_fma_f64 v[72:73], v[119:120], s[12:13], v[111:112]
	v_add_f64 v[66:67], v[60:61], v[66:67]
	v_fma_f64 v[60:61], v[113:114], s[0:1], v[64:65]
	v_fma_f64 v[64:65], v[113:114], s[2:3], v[109:110]
	v_add_f64 v[68:69], v[62:63], v[68:69]
	v_add_f64 v[113:114], v[78:79], -v[90:91]
	v_add_f64 v[119:120], v[80:81], -v[84:85]
	v_add_f64 v[46:47], v[46:47], v[74:75]
	v_fma_f64 v[62:63], v[117:118], s[2:3], v[70:71]
	v_fma_f64 v[70:71], v[117:118], s[0:1], v[72:73]
	v_add_f64 v[117:118], v[76:77], -v[88:89]
	v_fma_f64 v[60:61], v[66:67], s[14:15], v[60:61]
	v_fma_f64 v[64:65], v[66:67], s[14:15], v[64:65]
	;; [unrolled: 1-line block ×4, first 2 shown]
	v_add_f64 v[68:69], v[76:77], -v[80:81]
	v_add_f64 v[70:71], v[88:89], -v[84:85]
	s_delay_alu instid0(VALU_DEP_1) | instskip(SKIP_2) | instid1(VALU_DEP_1)
	v_add_f64 v[72:73], v[68:69], v[70:71]
	v_add_f64 v[68:69], v[78:79], -v[82:83]
	v_add_f64 v[70:71], v[90:91], -v[86:87]
	v_add_f64 v[74:75], v[68:69], v[70:71]
	v_add_f64 v[68:69], v[80:81], v[84:85]
	s_waitcnt lgkmcnt(0)
	s_delay_alu instid0(VALU_DEP_1) | instskip(SKIP_1) | instid1(VALU_DEP_1)
	v_fma_f64 v[109:110], v[68:69], -0.5, v[48:49]
	v_add_f64 v[68:69], v[82:83], v[86:87]
	v_fma_f64 v[111:112], v[68:69], -0.5, v[50:51]
	s_delay_alu instid0(VALU_DEP_3) | instskip(SKIP_1) | instid1(VALU_DEP_3)
	v_fma_f64 v[68:69], v[113:114], s[10:11], v[109:110]
	v_fma_f64 v[109:110], v[113:114], s[12:13], v[109:110]
	;; [unrolled: 1-line block ×3, first 2 shown]
	s_delay_alu instid0(VALU_DEP_3) | instskip(SKIP_1) | instid1(VALU_DEP_4)
	v_fma_f64 v[68:69], v[115:116], s[0:1], v[68:69]
	v_fma_f64 v[111:112], v[117:118], s[10:11], v[111:112]
	;; [unrolled: 1-line block ×3, first 2 shown]
	s_delay_alu instid0(VALU_DEP_4) | instskip(NEXT) | instid1(VALU_DEP_4)
	v_fma_f64 v[70:71], v[119:120], s[2:3], v[70:71]
	v_fma_f64 v[68:69], v[72:73], s[14:15], v[68:69]
	s_delay_alu instid0(VALU_DEP_4) | instskip(NEXT) | instid1(VALU_DEP_4)
	v_fma_f64 v[111:112], v[119:120], s[0:1], v[111:112]
	v_fma_f64 v[72:73], v[72:73], s[14:15], v[109:110]
	v_add_f64 v[109:110], v[76:77], v[88:89]
	v_fma_f64 v[70:71], v[74:75], s[14:15], v[70:71]
	s_delay_alu instid0(VALU_DEP_4) | instskip(SKIP_1) | instid1(VALU_DEP_4)
	v_fma_f64 v[74:75], v[74:75], s[14:15], v[111:112]
	v_add_f64 v[111:112], v[78:79], v[90:91]
	v_fma_f64 v[109:110], v[109:110], -0.5, v[48:49]
	v_add_f64 v[48:49], v[48:49], v[76:77]
	v_add_f64 v[76:77], v[80:81], -v[76:77]
	s_delay_alu instid0(VALU_DEP_4) | instskip(SKIP_1) | instid1(VALU_DEP_4)
	v_fma_f64 v[111:112], v[111:112], -0.5, v[50:51]
	v_add_f64 v[50:51], v[50:51], v[78:79]
	v_add_f64 v[48:49], v[48:49], v[80:81]
	v_fma_f64 v[80:81], v[115:116], s[12:13], v[109:110]
	v_fma_f64 v[109:110], v[115:116], s[10:11], v[109:110]
	v_add_f64 v[78:79], v[82:83], -v[78:79]
	v_add_f64 v[115:116], v[94:95], -v[106:107]
	v_add_f64 v[50:51], v[50:51], v[82:83]
	v_add_f64 v[48:49], v[48:49], v[84:85]
	v_add_f64 v[82:83], v[84:85], -v[88:89]
	v_add_f64 v[84:85], v[86:87], -v[90:91]
	s_delay_alu instid0(VALU_DEP_4) | instskip(NEXT) | instid1(VALU_DEP_4)
	v_add_f64 v[50:51], v[50:51], v[86:87]
	v_add_f64 v[48:49], v[48:49], v[88:89]
	v_fma_f64 v[86:87], v[119:120], s[10:11], v[111:112]
	v_fma_f64 v[88:89], v[119:120], s[12:13], v[111:112]
	v_add_f64 v[82:83], v[76:77], v[82:83]
	v_fma_f64 v[76:77], v[113:114], s[0:1], v[80:81]
	v_fma_f64 v[80:81], v[113:114], s[2:3], v[109:110]
	v_add_f64 v[84:85], v[78:79], v[84:85]
	v_add_f64 v[113:114], v[98:99], -v[102:103]
	v_add_f64 v[119:120], v[92:93], -v[104:105]
	v_add_f64 v[50:51], v[50:51], v[90:91]
	v_fma_f64 v[78:79], v[117:118], s[2:3], v[86:87]
	v_fma_f64 v[86:87], v[117:118], s[0:1], v[88:89]
	v_add_f64 v[117:118], v[96:97], -v[100:101]
	v_fma_f64 v[76:77], v[82:83], s[14:15], v[76:77]
	v_fma_f64 v[80:81], v[82:83], s[14:15], v[80:81]
	;; [unrolled: 1-line block ×4, first 2 shown]
	v_add_f64 v[84:85], v[96:97], -v[92:93]
	v_add_f64 v[86:87], v[100:101], -v[104:105]
	s_delay_alu instid0(VALU_DEP_1) | instskip(SKIP_2) | instid1(VALU_DEP_1)
	v_add_f64 v[88:89], v[84:85], v[86:87]
	v_add_f64 v[84:85], v[98:99], -v[94:95]
	v_add_f64 v[86:87], v[102:103], -v[106:107]
	v_add_f64 v[90:91], v[84:85], v[86:87]
	v_add_f64 v[84:85], v[92:93], v[104:105]
	s_delay_alu instid0(VALU_DEP_1) | instskip(SKIP_1) | instid1(VALU_DEP_1)
	v_fma_f64 v[109:110], v[84:85], -0.5, v[20:21]
	v_add_f64 v[84:85], v[94:95], v[106:107]
	v_fma_f64 v[111:112], v[84:85], -0.5, v[22:23]
	s_delay_alu instid0(VALU_DEP_3) | instskip(SKIP_1) | instid1(VALU_DEP_3)
	v_fma_f64 v[84:85], v[113:114], s[12:13], v[109:110]
	v_fma_f64 v[109:110], v[113:114], s[10:11], v[109:110]
	;; [unrolled: 1-line block ×4, first 2 shown]
	s_delay_alu instid0(VALU_DEP_4) | instskip(NEXT) | instid1(VALU_DEP_4)
	v_fma_f64 v[84:85], v[115:116], s[0:1], v[84:85]
	v_fma_f64 v[109:110], v[115:116], s[2:3], v[109:110]
	s_delay_alu instid0(VALU_DEP_4) | instskip(NEXT) | instid1(VALU_DEP_4)
	v_fma_f64 v[86:87], v[119:120], s[2:3], v[86:87]
	v_fma_f64 v[111:112], v[119:120], s[0:1], v[111:112]
	;; [unrolled: 3-line block ×3, first 2 shown]
	v_add_f64 v[109:110], v[96:97], v[100:101]
	v_fma_f64 v[86:87], v[90:91], s[14:15], v[86:87]
	v_fma_f64 v[90:91], v[90:91], s[14:15], v[111:112]
	v_add_f64 v[111:112], v[98:99], v[102:103]
	s_delay_alu instid0(VALU_DEP_4) | instskip(SKIP_2) | instid1(VALU_DEP_4)
	v_fma_f64 v[109:110], v[109:110], -0.5, v[20:21]
	v_add_f64 v[20:21], v[20:21], v[92:93]
	v_add_f64 v[92:93], v[92:93], -v[96:97]
	v_fma_f64 v[111:112], v[111:112], -0.5, v[22:23]
	v_add_f64 v[22:23], v[22:23], v[94:95]
	v_fma_f64 v[121:122], v[115:116], s[10:11], v[109:110]
	v_add_f64 v[20:21], v[20:21], v[96:97]
	v_add_f64 v[94:95], v[94:95], -v[98:99]
	v_add_f64 v[96:97], v[104:105], -v[100:101]
	v_fma_f64 v[109:110], v[115:116], s[12:13], v[109:110]
	v_add_f64 v[22:23], v[22:23], v[98:99]
	v_add_f64 v[98:99], v[106:107], -v[102:103]
	v_add_f64 v[20:21], v[20:21], v[100:101]
	v_fma_f64 v[100:101], v[119:120], s[12:13], v[111:112]
	v_add_f64 v[96:97], v[92:93], v[96:97]
	v_fma_f64 v[92:93], v[113:114], s[0:1], v[121:122]
	;; [unrolled: 2-line block ×5, first 2 shown]
	v_fma_f64 v[92:93], v[96:97], s[14:15], v[92:93]
	s_mov_b32 s2, 0xae67b348
	s_mov_b32 s3, 0x3f44ce19
	v_add_f64 v[22:23], v[22:23], v[106:107]
	v_fma_f64 v[100:101], v[117:118], s[0:1], v[102:103]
	s_mul_hi_u32 s1, s4, 0x20d
	v_fma_f64 v[94:95], v[98:99], s[14:15], v[94:95]
	v_fma_f64 v[96:97], v[96:97], s[14:15], v[104:105]
	s_delay_alu instid0(VALU_DEP_3)
	v_fma_f64 v[98:99], v[98:99], s[14:15], v[100:101]
	ds_store_b128 v108, v[0:3]
	ds_store_b128 v108, v[4:7] offset:1008
	ds_store_b128 v108, v[12:15] offset:10080
	ds_store_b128 v108, v[36:39] offset:11088
	ds_store_b128 v108, v[24:27] offset:20160
	ds_store_b128 v108, v[32:35] offset:21168
	ds_store_b128 v108, v[28:31] offset:6048
	ds_store_b128 v108, v[52:55] offset:7056
	ds_store_b128 v108, v[40:43] offset:16128
	ds_store_b128 v108, v[64:67] offset:17136
	ds_store_b128 v108, v[44:47] offset:2016
	ds_store_b128 v108, v[48:51] offset:3024
	ds_store_b128 v108, v[60:63] offset:12096
	ds_store_b128 v108, v[76:79] offset:13104
	ds_store_b128 v108, v[56:59] offset:22176
	ds_store_b128 v108, v[72:75] offset:23184
	ds_store_b128 v108, v[8:11] offset:5040
	ds_store_b128 v108, v[20:23] offset:4032
	ds_store_b128 v108, v[68:71] offset:8064
	ds_store_b128 v108, v[92:95] offset:9072
	ds_store_b128 v108, v[16:19] offset:15120
	ds_store_b128 v108, v[84:87] offset:14112
	ds_store_b128 v108, v[80:83] offset:18144
	ds_store_b128 v108, v[88:91] offset:19152
	ds_store_b128 v108, v[96:99] offset:24192
	s_waitcnt lgkmcnt(0)
	s_barrier
	buffer_gl0_inv
	ds_load_b128 v[0:3], v108
	ds_load_b128 v[4:7], v108 offset:1008
	s_clause 0x1
	scratch_load_b128 v[18:21], off, off offset:128
	scratch_load_b128 v[22:25], off, off offset:416
	ds_load_b128 v[8:11], v108 offset:8400
	s_waitcnt vmcnt(1) lgkmcnt(2)
	v_mul_f64 v[12:13], v[20:21], v[2:3]
	v_mul_f64 v[14:15], v[20:21], v[0:1]
	s_delay_alu instid0(VALU_DEP_2) | instskip(NEXT) | instid1(VALU_DEP_2)
	v_fma_f64 v[16:17], v[18:19], v[0:1], v[12:13]
	v_fma_f64 v[18:19], v[18:19], v[2:3], -v[14:15]
	ds_load_b128 v[0:3], v108 offset:9408
	s_waitcnt vmcnt(0) lgkmcnt(1)
	v_mul_f64 v[12:13], v[24:25], v[10:11]
	v_mul_f64 v[14:15], v[24:25], v[8:9]
	s_delay_alu instid0(VALU_DEP_2) | instskip(NEXT) | instid1(VALU_DEP_2)
	v_fma_f64 v[20:21], v[22:23], v[8:9], v[12:13]
	v_fma_f64 v[22:23], v[22:23], v[10:11], -v[14:15]
	ds_load_b128 v[8:11], v108 offset:16800
	ds_load_b128 v[12:15], v108 offset:17808
	s_clause 0x5
	scratch_load_b128 v[26:29], off, off offset:400
	scratch_load_b128 v[34:37], off, off offset:384
	;; [unrolled: 1-line block ×6, first 2 shown]
	s_waitcnt vmcnt(5) lgkmcnt(1)
	v_mul_f64 v[24:25], v[28:29], v[10:11]
	s_delay_alu instid0(VALU_DEP_1) | instskip(SKIP_1) | instid1(VALU_DEP_1)
	v_fma_f64 v[24:25], v[26:27], v[8:9], v[24:25]
	v_mul_f64 v[8:9], v[28:29], v[8:9]
	v_fma_f64 v[26:27], v[26:27], v[10:11], -v[8:9]
	s_waitcnt vmcnt(3)
	v_mul_f64 v[8:9], v[32:33], v[6:7]
	v_mul_f64 v[10:11], v[32:33], v[4:5]
	s_delay_alu instid0(VALU_DEP_2) | instskip(NEXT) | instid1(VALU_DEP_2)
	v_fma_f64 v[28:29], v[30:31], v[4:5], v[8:9]
	v_fma_f64 v[30:31], v[30:31], v[6:7], -v[10:11]
	v_mul_f64 v[4:5], v[36:37], v[2:3]
	v_mul_f64 v[6:7], v[36:37], v[0:1]
	s_waitcnt vmcnt(1) lgkmcnt(0)
	v_mul_f64 v[8:9], v[40:41], v[14:15]
	v_mul_f64 v[10:11], v[40:41], v[12:13]
	s_delay_alu instid0(VALU_DEP_4) | instskip(NEXT) | instid1(VALU_DEP_4)
	v_fma_f64 v[32:33], v[34:35], v[0:1], v[4:5]
	v_fma_f64 v[34:35], v[34:35], v[2:3], -v[6:7]
	ds_load_b128 v[0:3], v108 offset:2016
	ds_load_b128 v[4:7], v108 offset:3024
	v_fma_f64 v[36:37], v[38:39], v[12:13], v[8:9]
	v_fma_f64 v[38:39], v[38:39], v[14:15], -v[10:11]
	ds_load_b128 v[8:11], v108 offset:10416
	s_waitcnt lgkmcnt(2)
	v_mul_f64 v[12:13], v[44:45], v[2:3]
	v_mul_f64 v[14:15], v[44:45], v[0:1]
	s_delay_alu instid0(VALU_DEP_2) | instskip(NEXT) | instid1(VALU_DEP_2)
	v_fma_f64 v[40:41], v[42:43], v[0:1], v[12:13]
	v_fma_f64 v[42:43], v[42:43], v[2:3], -v[14:15]
	ds_load_b128 v[0:3], v108 offset:11424
	s_waitcnt vmcnt(0) lgkmcnt(1)
	v_mul_f64 v[12:13], v[48:49], v[10:11]
	v_mul_f64 v[14:15], v[48:49], v[8:9]
	s_delay_alu instid0(VALU_DEP_2) | instskip(NEXT) | instid1(VALU_DEP_2)
	v_fma_f64 v[44:45], v[46:47], v[8:9], v[12:13]
	v_fma_f64 v[46:47], v[46:47], v[10:11], -v[14:15]
	ds_load_b128 v[8:11], v108 offset:18816
	ds_load_b128 v[12:15], v108 offset:19824
	s_clause 0x5
	scratch_load_b128 v[50:53], off, off offset:336
	scratch_load_b128 v[64:67], off, off offset:320
	;; [unrolled: 1-line block ×6, first 2 shown]
	s_waitcnt vmcnt(5) lgkmcnt(1)
	v_mul_f64 v[48:49], v[52:53], v[10:11]
	s_waitcnt vmcnt(4)
	v_mul_f64 v[60:61], v[66:67], v[2:3]
	v_mul_f64 v[62:63], v[66:67], v[0:1]
	s_delay_alu instid0(VALU_DEP_3) | instskip(SKIP_1) | instid1(VALU_DEP_1)
	v_fma_f64 v[48:49], v[50:51], v[8:9], v[48:49]
	v_mul_f64 v[8:9], v[52:53], v[8:9]
	v_fma_f64 v[50:51], v[50:51], v[10:11], -v[8:9]
	s_waitcnt vmcnt(3)
	v_mul_f64 v[8:9], v[56:57], v[6:7]
	v_mul_f64 v[10:11], v[56:57], v[4:5]
	s_delay_alu instid0(VALU_DEP_2)
	v_fma_f64 v[52:53], v[54:55], v[4:5], v[8:9]
	scratch_load_b64 v[4:5], off, off offset:32 ; 8-byte Folded Reload
	v_fma_f64 v[54:55], v[54:55], v[6:7], -v[10:11]
	scratch_load_b32 v11, off, off          ; 4-byte Folded Reload
	v_mul_f64 v[6:7], v[18:19], s[2:3]
	v_mul_f64 v[18:19], v[26:27], s[2:3]
	;; [unrolled: 1-line block ×3, first 2 shown]
	s_waitcnt vmcnt(1)
	v_mov_b32_e32 v5, v4
	s_waitcnt vmcnt(0)
	v_mad_u64_u32 v[58:59], null, s4, v11, 0
	s_delay_alu instid0(VALU_DEP_2) | instskip(NEXT) | instid1(VALU_DEP_1)
	v_mad_u64_u32 v[56:57], null, s6, v5, 0
	v_mov_b32_e32 v4, v57
	s_delay_alu instid0(VALU_DEP_1) | instskip(SKIP_1) | instid1(VALU_DEP_2)
	v_mad_u64_u32 v[8:9], null, s7, v5, v[4:5]
	v_mul_f64 v[4:5], v[16:17], s[2:3]
	v_dual_mov_b32 v57, v8 :: v_dual_mov_b32 v8, v59
	s_delay_alu instid0(VALU_DEP_1) | instskip(NEXT) | instid1(VALU_DEP_2)
	v_lshlrev_b64 v[16:17], 4, v[56:57]
	v_mad_u64_u32 v[9:10], null, s5, v11, v[8:9]
	v_mul_f64 v[10:11], v[22:23], s[2:3]
	v_fma_f64 v[56:57], v[64:65], v[0:1], v[60:61]
	v_mul_f64 v[0:1], v[28:29], s[2:3]
	v_add_co_u32 v22, s0, s8, v16
	s_delay_alu instid0(VALU_DEP_1) | instskip(SKIP_3) | instid1(VALU_DEP_3)
	v_add_co_ci_u32_e64 v23, s0, s9, v17, s0
	v_mov_b32_e32 v59, v9
	v_mul_f64 v[8:9], v[20:21], s[2:3]
	v_mul_f64 v[16:17], v[24:25], s[2:3]
	v_lshlrev_b64 v[20:21], 4, v[58:59]
	v_fma_f64 v[58:59], v[64:65], v[2:3], -v[62:63]
	v_mul_f64 v[2:3], v[30:31], s[2:3]
	v_mul_f64 v[30:31], v[42:43], s[2:3]
	s_delay_alu instid0(VALU_DEP_4) | instskip(NEXT) | instid1(VALU_DEP_1)
	v_add_co_u32 v24, s0, v22, v20
	v_add_co_ci_u32_e64 v25, s0, v23, v21, s0
	s_mul_i32 s0, s5, 0x20d
	ds_load_b128 v[20:23], v108 offset:4032
	s_add_i32 s1, s1, s0
	s_mul_i32 s0, s4, 0x20d
	global_store_b128 v[24:25], v[4:7], off
	ds_load_b128 v[4:7], v108 offset:5040
	s_lshl_b64 s[6:7], s[0:1], 4
	s_mul_i32 s1, s5, 0xfffffc25
	v_add_co_u32 v24, s0, v24, s6
	s_delay_alu instid0(VALU_DEP_1) | instskip(SKIP_1) | instid1(SALU_CYCLE_1)
	v_add_co_ci_u32_e64 v25, s0, s7, v25, s0
	s_mul_hi_u32 s0, s4, 0xfffffc25
	s_sub_i32 s0, s0, s4
	s_mulk_i32 s4, 0xfc25
	s_add_i32 s5, s0, s1
	v_add_co_u32 v28, s0, v24, s6
	s_delay_alu instid0(VALU_DEP_1)
	v_add_co_ci_u32_e64 v29, s0, s7, v25, s0
	s_lshl_b64 s[4:5], s[4:5], 4
	s_clause 0x1
	global_store_b128 v[24:25], v[8:11], off
	global_store_b128 v[28:29], v[16:19], off
	ds_load_b128 v[16:19], v108 offset:12432
	v_mul_f64 v[24:25], v[36:37], s[2:3]
	v_add_co_u32 v36, s0, v28, s4
	s_delay_alu instid0(VALU_DEP_1) | instskip(SKIP_1) | instid1(VALU_DEP_3)
	v_add_co_ci_u32_e64 v37, s0, s5, v29, s0
	v_mul_f64 v[28:29], v[40:41], s[2:3]
	v_add_co_u32 v38, s0, v36, s6
	s_delay_alu instid0(VALU_DEP_1)
	v_add_co_ci_u32_e64 v39, s0, s7, v37, s0
	global_store_b128 v[36:37], v[0:3], off
	ds_load_b128 v[0:3], v108 offset:13440
	v_mul_f64 v[8:9], v[32:33], s[2:3]
	v_mul_f64 v[10:11], v[34:35], s[2:3]
	ds_load_b128 v[32:35], v108 offset:20832
	s_waitcnt lgkmcnt(2)
	v_mul_f64 v[36:37], v[84:85], v[18:19]
	v_mul_f64 v[40:41], v[84:85], v[16:17]
	scratch_load_b128 v[84:87], off, off offset:144 ; 16-byte Folded Reload
	v_mul_f64 v[60:61], v[74:75], v[14:15]
	v_mul_f64 v[62:63], v[74:75], v[12:13]
	global_store_b128 v[38:39], v[8:11], off
	v_mul_f64 v[8:9], v[48:49], s[2:3]
	v_fma_f64 v[60:61], v[72:73], v[12:13], v[60:61]
	v_fma_f64 v[62:63], v[72:73], v[14:15], -v[62:63]
	v_mul_f64 v[12:13], v[44:45], s[2:3]
	v_mul_f64 v[14:15], v[46:47], s[2:3]
	v_add_co_u32 v46, s0, v38, s6
	s_delay_alu instid0(VALU_DEP_1) | instskip(NEXT) | instid1(VALU_DEP_2)
	v_add_co_ci_u32_e64 v47, s0, s7, v39, s0
	v_add_co_u32 v10, s0, v46, s4
	s_delay_alu instid0(VALU_DEP_1) | instskip(SKIP_2) | instid1(VALU_DEP_1)
	v_add_co_ci_u32_e64 v11, s0, s5, v47, s0
	global_store_b128 v[46:47], v[24:27], off
	v_add_co_u32 v24, s0, v10, s6
	v_add_co_ci_u32_e64 v25, s0, s7, v11, s0
	global_store_b128 v[10:11], v[28:31], off
	v_add_co_u32 v80, s0, v24, s6
	s_delay_alu instid0(VALU_DEP_1)
	v_add_co_ci_u32_e64 v81, s0, s7, v25, s0
	ds_load_b128 v[28:31], v108 offset:14448
	v_mul_f64 v[10:11], v[50:51], s[2:3]
	v_mul_f64 v[46:47], v[62:63], s[2:3]
	global_store_b128 v[24:25], v[12:15], off
	v_mul_f64 v[12:13], v[52:53], s[2:3]
	v_mul_f64 v[14:15], v[54:55], s[2:3]
	v_fma_f64 v[52:53], v[82:83], v[16:17], v[36:37]
	v_fma_f64 v[54:55], v[82:83], v[18:19], -v[40:41]
	ds_load_b128 v[16:19], v108 offset:22848
	v_mul_f64 v[40:41], v[56:57], s[2:3]
	ds_load_b128 v[24:27], v108 offset:6048
	ds_load_b128 v[36:39], v108 offset:7056
	global_store_b128 v[80:81], v[8:11], off
	v_add_co_u32 v8, s0, v80, s4
	s_delay_alu instid0(VALU_DEP_1) | instskip(NEXT) | instid1(VALU_DEP_2)
	v_add_co_ci_u32_e64 v9, s0, s5, v81, s0
	v_add_co_u32 v10, s0, v8, s6
	s_delay_alu instid0(VALU_DEP_1) | instskip(NEXT) | instid1(VALU_DEP_2)
	v_add_co_ci_u32_e64 v11, s0, s7, v9, s0
	v_add_co_u32 v80, s0, v10, s6
	s_delay_alu instid0(VALU_DEP_1) | instskip(SKIP_2) | instid1(VALU_DEP_1)
	v_add_co_ci_u32_e64 v81, s0, s7, v11, s0
	global_store_b128 v[8:9], v[12:15], off
	v_add_co_u32 v8, s0, v80, s4
	v_add_co_ci_u32_e64 v9, s0, s5, v81, s0
	s_waitcnt vmcnt(0) lgkmcnt(4)
	v_mul_f64 v[42:43], v[86:87], v[34:35]
	v_mul_f64 v[44:45], v[86:87], v[32:33]
	scratch_load_b128 v[86:89], off, off offset:48 ; 16-byte Folded Reload
	v_mul_f64 v[64:65], v[70:71], v[22:23]
	v_mul_f64 v[66:67], v[70:71], v[20:21]
	v_fma_f64 v[82:83], v[84:85], v[32:33], v[42:43]
	v_fma_f64 v[84:85], v[84:85], v[34:35], -v[44:45]
	v_mul_f64 v[42:43], v[58:59], s[2:3]
	v_fma_f64 v[64:65], v[68:69], v[20:21], v[64:65]
	v_fma_f64 v[66:67], v[68:69], v[22:23], -v[66:67]
	ds_load_b128 v[20:23], v108 offset:21840
	v_mul_f64 v[44:45], v[60:61], s[2:3]
	ds_load_b128 v[32:35], v108 offset:15456
	v_mul_f64 v[48:49], v[64:65], s[2:3]
	v_mul_f64 v[50:51], v[66:67], s[2:3]
	s_waitcnt vmcnt(0)
	v_mul_f64 v[68:69], v[88:89], v[6:7]
	v_mul_f64 v[70:71], v[88:89], v[4:5]
	scratch_load_b128 v[88:91], off, off offset:64 ; 16-byte Folded Reload
	v_fma_f64 v[56:57], v[86:87], v[4:5], v[68:69]
	v_fma_f64 v[68:69], v[86:87], v[6:7], -v[70:71]
	ds_load_b128 v[4:7], v108 offset:23856
	s_waitcnt vmcnt(0)
	v_mul_f64 v[72:73], v[90:91], v[2:3]
	v_mul_f64 v[74:75], v[90:91], v[0:1]
	scratch_load_b128 v[90:93], off, off offset:112 ; 16-byte Folded Reload
	v_fma_f64 v[64:65], v[88:89], v[0:1], v[72:73]
	v_fma_f64 v[66:67], v[88:89], v[2:3], -v[74:75]
	s_delay_alu instid0(VALU_DEP_2) | instskip(NEXT) | instid1(VALU_DEP_2)
	v_mul_f64 v[12:13], v[64:65], s[2:3]
	v_mul_f64 v[14:15], v[66:67], s[2:3]
	s_waitcnt vmcnt(0) lgkmcnt(2)
	v_mul_f64 v[76:77], v[92:93], v[22:23]
	v_mul_f64 v[78:79], v[92:93], v[20:21]
	scratch_load_b128 v[92:95], off, off offset:160 ; 16-byte Folded Reload
	v_fma_f64 v[20:21], v[90:91], v[20:21], v[76:77]
	v_fma_f64 v[22:23], v[90:91], v[22:23], -v[78:79]
	s_waitcnt vmcnt(0)
	v_mul_f64 v[58:59], v[94:95], v[26:27]
	v_mul_f64 v[60:61], v[94:95], v[24:25]
	scratch_load_b128 v[94:97], off, off offset:176 ; 16-byte Folded Reload
	v_fma_f64 v[24:25], v[92:93], v[24:25], v[58:59]
	v_fma_f64 v[26:27], v[92:93], v[26:27], -v[60:61]
	s_waitcnt vmcnt(0)
	v_mul_f64 v[62:63], v[96:97], v[30:31]
	v_mul_f64 v[0:1], v[96:97], v[28:29]
	scratch_load_b128 v[96:99], off, off offset:192 ; 16-byte Folded Reload
	v_fma_f64 v[28:29], v[94:95], v[28:29], v[62:63]
	v_fma_f64 v[30:31], v[94:95], v[30:31], -v[0:1]
	v_mul_f64 v[0:1], v[52:53], s[2:3]
	v_add_co_u32 v52, s0, v8, s6
	s_delay_alu instid0(VALU_DEP_1)
	v_add_co_ci_u32_e64 v53, s0, s7, v9, s0
	s_waitcnt vmcnt(0)
	v_mul_f64 v[2:3], v[98:99], v[18:19]
	v_mul_f64 v[70:71], v[98:99], v[16:17]
	scratch_load_b128 v[98:101], off, off offset:224 ; 16-byte Folded Reload
	s_waitcnt vmcnt(0)
	v_mul_f64 v[72:73], v[100:101], v[38:39]
	v_mul_f64 v[74:75], v[100:101], v[36:37]
	scratch_load_b128 v[100:103], off, off offset:256 ; 16-byte Folded Reload
	v_fma_f64 v[36:37], v[98:99], v[36:37], v[72:73]
	v_fma_f64 v[38:39], v[98:99], v[38:39], -v[74:75]
	s_waitcnt vmcnt(0) lgkmcnt(1)
	v_mul_f64 v[76:77], v[102:103], v[34:35]
	v_mul_f64 v[78:79], v[102:103], v[32:33]
	scratch_load_b128 v[102:105], off, off offset:272 ; 16-byte Folded Reload
	global_store_b128 v[10:11], v[40:43], off
	global_store_b128 v[80:81], v[44:47], off
	;; [unrolled: 1-line block ×3, first 2 shown]
	v_fma_f64 v[40:41], v[96:97], v[16:17], v[2:3]
	v_fma_f64 v[42:43], v[96:97], v[18:19], -v[70:71]
	v_mul_f64 v[2:3], v[54:55], s[2:3]
	v_add_co_u32 v54, s0, v52, s6
	s_delay_alu instid0(VALU_DEP_1) | instskip(SKIP_2) | instid1(VALU_DEP_4)
	v_add_co_ci_u32_e64 v55, s0, s7, v53, s0
	v_mul_f64 v[8:9], v[56:57], s[2:3]
	v_mul_f64 v[10:11], v[68:69], s[2:3]
	v_add_co_u32 v56, s0, v54, s4
	s_delay_alu instid0(VALU_DEP_1)
	v_add_co_ci_u32_e64 v57, s0, s5, v55, s0
	v_mul_f64 v[16:17], v[20:21], s[2:3]
	v_mul_f64 v[18:19], v[22:23], s[2:3]
	;; [unrolled: 1-line block ×4, first 2 shown]
	v_add_co_u32 v58, s0, v56, s6
	s_delay_alu instid0(VALU_DEP_1)
	v_add_co_ci_u32_e64 v59, s0, s7, v57, s0
	v_mul_f64 v[24:25], v[28:29], s[2:3]
	v_mul_f64 v[26:27], v[30:31], s[2:3]
	v_fma_f64 v[44:45], v[100:101], v[32:33], v[76:77]
	v_fma_f64 v[46:47], v[100:101], v[34:35], -v[78:79]
	v_mul_f64 v[32:33], v[36:37], s[2:3]
	v_mul_f64 v[34:35], v[38:39], s[2:3]
	v_mul_f64 v[28:29], v[40:41], s[2:3]
	v_mul_f64 v[30:31], v[42:43], s[2:3]
	global_store_b128 v[52:53], v[0:3], off
	v_mul_f64 v[36:37], v[44:45], s[2:3]
	v_add_co_u32 v44, s0, v58, s6
	v_mul_f64 v[38:39], v[46:47], s[2:3]
	v_add_co_ci_u32_e64 v45, s0, s7, v59, s0
	s_delay_alu instid0(VALU_DEP_3) | instskip(NEXT) | instid1(VALU_DEP_1)
	v_add_co_u32 v0, s0, v44, s4
	v_add_co_ci_u32_e64 v1, s0, s5, v45, s0
	s_delay_alu instid0(VALU_DEP_2) | instskip(NEXT) | instid1(VALU_DEP_1)
	v_add_co_u32 v2, s0, v0, s6
	v_add_co_ci_u32_e64 v3, s0, s7, v1, s0
	s_waitcnt vmcnt(0) lgkmcnt(0)
	v_mul_f64 v[86:87], v[104:105], v[6:7]
	v_mul_f64 v[88:89], v[104:105], v[4:5]
	s_delay_alu instid0(VALU_DEP_2) | instskip(NEXT) | instid1(VALU_DEP_2)
	v_fma_f64 v[48:49], v[102:103], v[4:5], v[86:87]
	v_fma_f64 v[50:51], v[102:103], v[6:7], -v[88:89]
	v_mul_f64 v[4:5], v[82:83], s[2:3]
	v_mul_f64 v[6:7], v[84:85], s[2:3]
	s_delay_alu instid0(VALU_DEP_4) | instskip(NEXT) | instid1(VALU_DEP_4)
	v_mul_f64 v[40:41], v[48:49], s[2:3]
	v_mul_f64 v[42:43], v[50:51], s[2:3]
	global_store_b128 v[54:55], v[4:7], off
	v_add_co_u32 v4, s0, v2, s6
	s_delay_alu instid0(VALU_DEP_1) | instskip(SKIP_2) | instid1(VALU_DEP_1)
	v_add_co_ci_u32_e64 v5, s0, s7, v3, s0
	global_store_b128 v[56:57], v[8:11], off
	v_add_co_u32 v6, s0, v4, s4
	v_add_co_ci_u32_e64 v7, s0, s5, v5, s0
	global_store_b128 v[58:59], v[12:15], off
	v_add_co_u32 v8, s0, v6, s6
	s_delay_alu instid0(VALU_DEP_1) | instskip(SKIP_3) | instid1(VALU_DEP_1)
	v_add_co_ci_u32_e64 v9, s0, s7, v7, s0
	global_store_b128 v[44:45], v[16:19], off
	global_store_b128 v[0:1], v[20:23], off
	v_add_co_u32 v0, s0, v8, s6
	v_add_co_ci_u32_e64 v1, s0, s7, v9, s0
	global_store_b128 v[2:3], v[24:27], off
	global_store_b128 v[4:5], v[28:31], off
	;; [unrolled: 1-line block ×5, first 2 shown]
	s_and_b32 exec_lo, exec_lo, vcc_lo
	s_cbranch_execz .LBB0_31
; %bb.30:
	scratch_load_b64 v[2:3], off, off offset:40 ; 8-byte Folded Reload
	s_waitcnt vmcnt(0)
	global_load_b128 v[2:5], v[2:3], off offset:3968
	ds_load_b128 v[6:9], v108 offset:8064
	ds_load_b128 v[10:13], v108 offset:16464
	s_waitcnt vmcnt(0) lgkmcnt(1)
	v_mul_f64 v[14:15], v[8:9], v[4:5]
	v_mul_f64 v[4:5], v[6:7], v[4:5]
	s_delay_alu instid0(VALU_DEP_2) | instskip(NEXT) | instid1(VALU_DEP_2)
	v_fma_f64 v[6:7], v[6:7], v[2:3], v[14:15]
	v_fma_f64 v[4:5], v[2:3], v[8:9], -v[4:5]
	s_delay_alu instid0(VALU_DEP_2)
	v_mul_f64 v[2:3], v[6:7], s[2:3]
	v_add_co_u32 v6, vcc_lo, v0, s4
	v_add_co_ci_u32_e32 v7, vcc_lo, s5, v1, vcc_lo
	scratch_load_b64 v[0:1], off, off offset:24 ; 8-byte Folded Reload
	v_mul_f64 v[4:5], v[4:5], s[2:3]
	v_add_co_u32 v8, vcc_lo, v6, s6
	v_add_co_ci_u32_e32 v9, vcc_lo, s7, v7, vcc_lo
	global_store_b128 v[6:7], v[2:5], off
	s_waitcnt vmcnt(0)
	global_load_b128 v[0:3], v[0:1], off offset:80
	s_waitcnt vmcnt(0) lgkmcnt(0)
	v_mul_f64 v[4:5], v[12:13], v[2:3]
	v_mul_f64 v[2:3], v[10:11], v[2:3]
	s_delay_alu instid0(VALU_DEP_2) | instskip(NEXT) | instid1(VALU_DEP_2)
	v_fma_f64 v[4:5], v[10:11], v[0:1], v[4:5]
	v_fma_f64 v[2:3], v[0:1], v[12:13], -v[2:3]
	s_delay_alu instid0(VALU_DEP_2) | instskip(NEXT) | instid1(VALU_DEP_2)
	v_mul_f64 v[0:1], v[4:5], s[2:3]
	v_mul_f64 v[2:3], v[2:3], s[2:3]
	ds_load_b128 v[4:7], v108 offset:24864
	global_store_b128 v[8:9], v[0:3], off
	scratch_load_b64 v[0:1], off, off offset:1384 ; 8-byte Folded Reload
	s_waitcnt vmcnt(0)
	global_load_b128 v[0:3], v[0:1], off offset:288
	s_waitcnt vmcnt(0) lgkmcnt(0)
	v_mul_f64 v[10:11], v[6:7], v[2:3]
	v_mul_f64 v[2:3], v[4:5], v[2:3]
	s_delay_alu instid0(VALU_DEP_2) | instskip(NEXT) | instid1(VALU_DEP_2)
	v_fma_f64 v[4:5], v[4:5], v[0:1], v[10:11]
	v_fma_f64 v[2:3], v[0:1], v[6:7], -v[2:3]
	s_delay_alu instid0(VALU_DEP_2) | instskip(NEXT) | instid1(VALU_DEP_2)
	v_mul_f64 v[0:1], v[4:5], s[2:3]
	v_mul_f64 v[2:3], v[2:3], s[2:3]
	v_add_co_u32 v4, vcc_lo, v8, s6
	v_add_co_ci_u32_e32 v5, vcc_lo, s7, v9, vcc_lo
	global_store_b128 v[4:5], v[0:3], off
.LBB0_31:
	s_nop 0
	s_sendmsg sendmsg(MSG_DEALLOC_VGPRS)
	s_endpgm
	.section	.rodata,"a",@progbits
	.p2align	6, 0x0
	.amdhsa_kernel bluestein_single_back_len1575_dim1_dp_op_CI_CI
		.amdhsa_group_segment_fixed_size 25200
		.amdhsa_private_segment_fixed_size 1500
		.amdhsa_kernarg_size 104
		.amdhsa_user_sgpr_count 15
		.amdhsa_user_sgpr_dispatch_ptr 0
		.amdhsa_user_sgpr_queue_ptr 0
		.amdhsa_user_sgpr_kernarg_segment_ptr 1
		.amdhsa_user_sgpr_dispatch_id 0
		.amdhsa_user_sgpr_private_segment_size 0
		.amdhsa_wavefront_size32 1
		.amdhsa_uses_dynamic_stack 0
		.amdhsa_enable_private_segment 1
		.amdhsa_system_sgpr_workgroup_id_x 1
		.amdhsa_system_sgpr_workgroup_id_y 0
		.amdhsa_system_sgpr_workgroup_id_z 0
		.amdhsa_system_sgpr_workgroup_info 0
		.amdhsa_system_vgpr_workitem_id 0
		.amdhsa_next_free_vgpr 256
		.amdhsa_next_free_sgpr 30
		.amdhsa_reserve_vcc 1
		.amdhsa_float_round_mode_32 0
		.amdhsa_float_round_mode_16_64 0
		.amdhsa_float_denorm_mode_32 3
		.amdhsa_float_denorm_mode_16_64 3
		.amdhsa_dx10_clamp 1
		.amdhsa_ieee_mode 1
		.amdhsa_fp16_overflow 0
		.amdhsa_workgroup_processor_mode 1
		.amdhsa_memory_ordered 1
		.amdhsa_forward_progress 0
		.amdhsa_shared_vgpr_count 0
		.amdhsa_exception_fp_ieee_invalid_op 0
		.amdhsa_exception_fp_denorm_src 0
		.amdhsa_exception_fp_ieee_div_zero 0
		.amdhsa_exception_fp_ieee_overflow 0
		.amdhsa_exception_fp_ieee_underflow 0
		.amdhsa_exception_fp_ieee_inexact 0
		.amdhsa_exception_int_div_zero 0
	.end_amdhsa_kernel
	.text
.Lfunc_end0:
	.size	bluestein_single_back_len1575_dim1_dp_op_CI_CI, .Lfunc_end0-bluestein_single_back_len1575_dim1_dp_op_CI_CI
                                        ; -- End function
	.section	.AMDGPU.csdata,"",@progbits
; Kernel info:
; codeLenInByte = 43312
; NumSgprs: 32
; NumVgprs: 256
; ScratchSize: 1500
; MemoryBound: 0
; FloatMode: 240
; IeeeMode: 1
; LDSByteSize: 25200 bytes/workgroup (compile time only)
; SGPRBlocks: 3
; VGPRBlocks: 31
; NumSGPRsForWavesPerEU: 32
; NumVGPRsForWavesPerEU: 256
; Occupancy: 3
; WaveLimiterHint : 1
; COMPUTE_PGM_RSRC2:SCRATCH_EN: 1
; COMPUTE_PGM_RSRC2:USER_SGPR: 15
; COMPUTE_PGM_RSRC2:TRAP_HANDLER: 0
; COMPUTE_PGM_RSRC2:TGID_X_EN: 1
; COMPUTE_PGM_RSRC2:TGID_Y_EN: 0
; COMPUTE_PGM_RSRC2:TGID_Z_EN: 0
; COMPUTE_PGM_RSRC2:TIDIG_COMP_CNT: 0
	.text
	.p2alignl 7, 3214868480
	.fill 96, 4, 3214868480
	.type	__hip_cuid_2e5cd95899523242,@object ; @__hip_cuid_2e5cd95899523242
	.section	.bss,"aw",@nobits
	.globl	__hip_cuid_2e5cd95899523242
__hip_cuid_2e5cd95899523242:
	.byte	0                               ; 0x0
	.size	__hip_cuid_2e5cd95899523242, 1

	.ident	"AMD clang version 19.0.0git (https://github.com/RadeonOpenCompute/llvm-project roc-6.4.0 25133 c7fe45cf4b819c5991fe208aaa96edf142730f1d)"
	.section	".note.GNU-stack","",@progbits
	.addrsig
	.addrsig_sym __hip_cuid_2e5cd95899523242
	.amdgpu_metadata
---
amdhsa.kernels:
  - .args:
      - .actual_access:  read_only
        .address_space:  global
        .offset:         0
        .size:           8
        .value_kind:     global_buffer
      - .actual_access:  read_only
        .address_space:  global
        .offset:         8
        .size:           8
        .value_kind:     global_buffer
      - .actual_access:  read_only
        .address_space:  global
        .offset:         16
        .size:           8
        .value_kind:     global_buffer
      - .actual_access:  read_only
        .address_space:  global
        .offset:         24
        .size:           8
        .value_kind:     global_buffer
      - .actual_access:  read_only
        .address_space:  global
        .offset:         32
        .size:           8
        .value_kind:     global_buffer
      - .offset:         40
        .size:           8
        .value_kind:     by_value
      - .address_space:  global
        .offset:         48
        .size:           8
        .value_kind:     global_buffer
      - .address_space:  global
        .offset:         56
        .size:           8
        .value_kind:     global_buffer
      - .address_space:  global
        .offset:         64
        .size:           8
        .value_kind:     global_buffer
      - .address_space:  global
        .offset:         72
        .size:           8
        .value_kind:     global_buffer
      - .offset:         80
        .size:           4
        .value_kind:     by_value
      - .address_space:  global
        .offset:         88
        .size:           8
        .value_kind:     global_buffer
      - .address_space:  global
        .offset:         96
        .size:           8
        .value_kind:     global_buffer
    .group_segment_fixed_size: 25200
    .kernarg_segment_align: 8
    .kernarg_segment_size: 104
    .language:       OpenCL C
    .language_version:
      - 2
      - 0
    .max_flat_workgroup_size: 63
    .name:           bluestein_single_back_len1575_dim1_dp_op_CI_CI
    .private_segment_fixed_size: 1500
    .sgpr_count:     32
    .sgpr_spill_count: 0
    .symbol:         bluestein_single_back_len1575_dim1_dp_op_CI_CI.kd
    .uniform_work_group_size: 1
    .uses_dynamic_stack: false
    .vgpr_count:     256
    .vgpr_spill_count: 379
    .wavefront_size: 32
    .workgroup_processor_mode: 1
amdhsa.target:   amdgcn-amd-amdhsa--gfx1100
amdhsa.version:
  - 1
  - 2
...

	.end_amdgpu_metadata
